;; amdgpu-corpus repo=ROCm/rocFFT kind=compiled arch=gfx906 opt=O3
	.text
	.amdgcn_target "amdgcn-amd-amdhsa--gfx906"
	.amdhsa_code_object_version 6
	.protected	fft_rtc_fwd_len918_factors_17_9_2_3_wgs_102_tpt_102_halfLds_dp_ip_CI_sbrr_dirReg ; -- Begin function fft_rtc_fwd_len918_factors_17_9_2_3_wgs_102_tpt_102_halfLds_dp_ip_CI_sbrr_dirReg
	.globl	fft_rtc_fwd_len918_factors_17_9_2_3_wgs_102_tpt_102_halfLds_dp_ip_CI_sbrr_dirReg
	.p2align	8
	.type	fft_rtc_fwd_len918_factors_17_9_2_3_wgs_102_tpt_102_halfLds_dp_ip_CI_sbrr_dirReg,@function
fft_rtc_fwd_len918_factors_17_9_2_3_wgs_102_tpt_102_halfLds_dp_ip_CI_sbrr_dirReg: ; @fft_rtc_fwd_len918_factors_17_9_2_3_wgs_102_tpt_102_halfLds_dp_ip_CI_sbrr_dirReg
; %bb.0:
	s_load_dwordx2 s[2:3], s[4:5], 0x18
	s_load_dwordx4 s[8:11], s[4:5], 0x0
	s_load_dwordx2 s[14:15], s[4:5], 0x50
	v_mul_u32_u24_e32 v1, 0x283, v0
	v_add_u32_sdwa v5, s6, v1 dst_sel:DWORD dst_unused:UNUSED_PAD src0_sel:DWORD src1_sel:WORD_1
	s_waitcnt lgkmcnt(0)
	s_load_dwordx2 s[12:13], s[2:3], 0x0
	v_cmp_lt_u64_e64 s[0:1], s[10:11], 2
	v_mov_b32_e32 v3, 0
	v_mov_b32_e32 v1, 0
	;; [unrolled: 1-line block ×3, first 2 shown]
	s_and_b64 vcc, exec, s[0:1]
	v_mov_b32_e32 v2, 0
	s_cbranch_vccnz .LBB0_8
; %bb.1:
	s_load_dwordx2 s[0:1], s[4:5], 0x10
	s_add_u32 s6, s2, 8
	s_addc_u32 s7, s3, 0
	v_mov_b32_e32 v1, 0
	v_mov_b32_e32 v2, 0
	s_waitcnt lgkmcnt(0)
	s_add_u32 s16, s0, 8
	s_addc_u32 s17, s1, 0
	s_mov_b64 s[18:19], 1
.LBB0_2:                                ; =>This Inner Loop Header: Depth=1
	s_load_dwordx2 s[20:21], s[16:17], 0x0
                                        ; implicit-def: $vgpr7_vgpr8
	s_waitcnt lgkmcnt(0)
	v_or_b32_e32 v4, s21, v6
	v_cmp_ne_u64_e32 vcc, 0, v[3:4]
	s_and_saveexec_b64 s[0:1], vcc
	s_xor_b64 s[22:23], exec, s[0:1]
	s_cbranch_execz .LBB0_4
; %bb.3:                                ;   in Loop: Header=BB0_2 Depth=1
	v_cvt_f32_u32_e32 v4, s20
	v_cvt_f32_u32_e32 v7, s21
	s_sub_u32 s0, 0, s20
	s_subb_u32 s1, 0, s21
	v_mac_f32_e32 v4, 0x4f800000, v7
	v_rcp_f32_e32 v4, v4
	v_mul_f32_e32 v4, 0x5f7ffffc, v4
	v_mul_f32_e32 v7, 0x2f800000, v4
	v_trunc_f32_e32 v7, v7
	v_mac_f32_e32 v4, 0xcf800000, v7
	v_cvt_u32_f32_e32 v7, v7
	v_cvt_u32_f32_e32 v4, v4
	v_mul_lo_u32 v8, s0, v7
	v_mul_hi_u32 v9, s0, v4
	v_mul_lo_u32 v11, s1, v4
	v_mul_lo_u32 v10, s0, v4
	v_add_u32_e32 v8, v9, v8
	v_add_u32_e32 v8, v8, v11
	v_mul_hi_u32 v9, v4, v10
	v_mul_lo_u32 v11, v4, v8
	v_mul_hi_u32 v13, v4, v8
	v_mul_hi_u32 v12, v7, v10
	v_mul_lo_u32 v10, v7, v10
	v_mul_hi_u32 v14, v7, v8
	v_add_co_u32_e32 v9, vcc, v9, v11
	v_addc_co_u32_e32 v11, vcc, 0, v13, vcc
	v_mul_lo_u32 v8, v7, v8
	v_add_co_u32_e32 v9, vcc, v9, v10
	v_addc_co_u32_e32 v9, vcc, v11, v12, vcc
	v_addc_co_u32_e32 v10, vcc, 0, v14, vcc
	v_add_co_u32_e32 v8, vcc, v9, v8
	v_addc_co_u32_e32 v9, vcc, 0, v10, vcc
	v_add_co_u32_e32 v4, vcc, v4, v8
	v_addc_co_u32_e32 v7, vcc, v7, v9, vcc
	v_mul_lo_u32 v8, s0, v7
	v_mul_hi_u32 v9, s0, v4
	v_mul_lo_u32 v10, s1, v4
	v_mul_lo_u32 v11, s0, v4
	v_add_u32_e32 v8, v9, v8
	v_add_u32_e32 v8, v8, v10
	v_mul_lo_u32 v12, v4, v8
	v_mul_hi_u32 v13, v4, v11
	v_mul_hi_u32 v14, v4, v8
	;; [unrolled: 1-line block ×3, first 2 shown]
	v_mul_lo_u32 v11, v7, v11
	v_mul_hi_u32 v9, v7, v8
	v_add_co_u32_e32 v12, vcc, v13, v12
	v_addc_co_u32_e32 v13, vcc, 0, v14, vcc
	v_mul_lo_u32 v8, v7, v8
	v_add_co_u32_e32 v11, vcc, v12, v11
	v_addc_co_u32_e32 v10, vcc, v13, v10, vcc
	v_addc_co_u32_e32 v9, vcc, 0, v9, vcc
	v_add_co_u32_e32 v8, vcc, v10, v8
	v_addc_co_u32_e32 v9, vcc, 0, v9, vcc
	v_add_co_u32_e32 v4, vcc, v4, v8
	v_addc_co_u32_e32 v9, vcc, v7, v9, vcc
	v_mad_u64_u32 v[7:8], s[0:1], v5, v9, 0
	v_mul_hi_u32 v10, v5, v4
	v_add_co_u32_e32 v11, vcc, v10, v7
	v_addc_co_u32_e32 v12, vcc, 0, v8, vcc
	v_mad_u64_u32 v[7:8], s[0:1], v6, v4, 0
	v_mad_u64_u32 v[9:10], s[0:1], v6, v9, 0
	v_add_co_u32_e32 v4, vcc, v11, v7
	v_addc_co_u32_e32 v4, vcc, v12, v8, vcc
	v_addc_co_u32_e32 v7, vcc, 0, v10, vcc
	v_add_co_u32_e32 v4, vcc, v4, v9
	v_addc_co_u32_e32 v9, vcc, 0, v7, vcc
	v_mul_lo_u32 v10, s21, v4
	v_mul_lo_u32 v11, s20, v9
	v_mad_u64_u32 v[7:8], s[0:1], s20, v4, 0
	v_add3_u32 v8, v8, v11, v10
	v_sub_u32_e32 v10, v6, v8
	v_mov_b32_e32 v11, s21
	v_sub_co_u32_e32 v7, vcc, v5, v7
	v_subb_co_u32_e64 v10, s[0:1], v10, v11, vcc
	v_subrev_co_u32_e64 v11, s[0:1], s20, v7
	v_subbrev_co_u32_e64 v10, s[0:1], 0, v10, s[0:1]
	v_cmp_le_u32_e64 s[0:1], s21, v10
	v_cndmask_b32_e64 v12, 0, -1, s[0:1]
	v_cmp_le_u32_e64 s[0:1], s20, v11
	v_cndmask_b32_e64 v11, 0, -1, s[0:1]
	v_cmp_eq_u32_e64 s[0:1], s21, v10
	v_cndmask_b32_e64 v10, v12, v11, s[0:1]
	v_add_co_u32_e64 v11, s[0:1], 2, v4
	v_addc_co_u32_e64 v12, s[0:1], 0, v9, s[0:1]
	v_add_co_u32_e64 v13, s[0:1], 1, v4
	v_addc_co_u32_e64 v14, s[0:1], 0, v9, s[0:1]
	v_subb_co_u32_e32 v8, vcc, v6, v8, vcc
	v_cmp_ne_u32_e64 s[0:1], 0, v10
	v_cmp_le_u32_e32 vcc, s21, v8
	v_cndmask_b32_e64 v10, v14, v12, s[0:1]
	v_cndmask_b32_e64 v12, 0, -1, vcc
	v_cmp_le_u32_e32 vcc, s20, v7
	v_cndmask_b32_e64 v7, 0, -1, vcc
	v_cmp_eq_u32_e32 vcc, s21, v8
	v_cndmask_b32_e32 v7, v12, v7, vcc
	v_cmp_ne_u32_e32 vcc, 0, v7
	v_cndmask_b32_e64 v7, v13, v11, s[0:1]
	v_cndmask_b32_e32 v8, v9, v10, vcc
	v_cndmask_b32_e32 v7, v4, v7, vcc
.LBB0_4:                                ;   in Loop: Header=BB0_2 Depth=1
	s_andn2_saveexec_b64 s[0:1], s[22:23]
	s_cbranch_execz .LBB0_6
; %bb.5:                                ;   in Loop: Header=BB0_2 Depth=1
	v_cvt_f32_u32_e32 v4, s20
	s_sub_i32 s22, 0, s20
	v_rcp_iflag_f32_e32 v4, v4
	v_mul_f32_e32 v4, 0x4f7ffffe, v4
	v_cvt_u32_f32_e32 v4, v4
	v_mul_lo_u32 v7, s22, v4
	v_mul_hi_u32 v7, v4, v7
	v_add_u32_e32 v4, v4, v7
	v_mul_hi_u32 v4, v5, v4
	v_mul_lo_u32 v7, v4, s20
	v_add_u32_e32 v8, 1, v4
	v_sub_u32_e32 v7, v5, v7
	v_subrev_u32_e32 v9, s20, v7
	v_cmp_le_u32_e32 vcc, s20, v7
	v_cndmask_b32_e32 v7, v7, v9, vcc
	v_cndmask_b32_e32 v4, v4, v8, vcc
	v_add_u32_e32 v8, 1, v4
	v_cmp_le_u32_e32 vcc, s20, v7
	v_cndmask_b32_e32 v7, v4, v8, vcc
	v_mov_b32_e32 v8, v3
.LBB0_6:                                ;   in Loop: Header=BB0_2 Depth=1
	s_or_b64 exec, exec, s[0:1]
	v_mul_lo_u32 v4, v8, s20
	v_mul_lo_u32 v11, v7, s21
	v_mad_u64_u32 v[9:10], s[0:1], v7, s20, 0
	s_load_dwordx2 s[0:1], s[6:7], 0x0
	s_add_u32 s18, s18, 1
	v_add3_u32 v4, v10, v11, v4
	v_sub_co_u32_e32 v5, vcc, v5, v9
	v_subb_co_u32_e32 v4, vcc, v6, v4, vcc
	s_waitcnt lgkmcnt(0)
	v_mul_lo_u32 v4, s0, v4
	v_mul_lo_u32 v6, s1, v5
	v_mad_u64_u32 v[1:2], s[0:1], s0, v5, v[1:2]
	s_addc_u32 s19, s19, 0
	s_add_u32 s6, s6, 8
	v_add3_u32 v2, v6, v2, v4
	v_mov_b32_e32 v4, s10
	v_mov_b32_e32 v5, s11
	s_addc_u32 s7, s7, 0
	v_cmp_ge_u64_e32 vcc, s[18:19], v[4:5]
	s_add_u32 s16, s16, 8
	s_addc_u32 s17, s17, 0
	s_cbranch_vccnz .LBB0_9
; %bb.7:                                ;   in Loop: Header=BB0_2 Depth=1
	v_mov_b32_e32 v5, v7
	v_mov_b32_e32 v6, v8
	s_branch .LBB0_2
.LBB0_8:
	v_mov_b32_e32 v8, v6
	v_mov_b32_e32 v7, v5
.LBB0_9:
	s_lshl_b64 s[0:1], s[10:11], 3
	s_add_u32 s0, s2, s0
	s_addc_u32 s1, s3, s1
	s_load_dwordx2 s[2:3], s[0:1], 0x0
	s_load_dwordx2 s[6:7], s[4:5], 0x20
                                        ; implicit-def: $vgpr14_vgpr15
                                        ; implicit-def: $vgpr18_vgpr19
                                        ; implicit-def: $vgpr22_vgpr23
                                        ; implicit-def: $vgpr26_vgpr27
                                        ; implicit-def: $vgpr30_vgpr31
                                        ; implicit-def: $vgpr34_vgpr35
                                        ; implicit-def: $vgpr38_vgpr39
                                        ; implicit-def: $vgpr42_vgpr43
                                        ; implicit-def: $vgpr46_vgpr47
                                        ; implicit-def: $vgpr50_vgpr51
                                        ; implicit-def: $vgpr54_vgpr55
                                        ; implicit-def: $vgpr58_vgpr59
                                        ; implicit-def: $vgpr62_vgpr63
                                        ; implicit-def: $vgpr66_vgpr67
                                        ; implicit-def: $vgpr10_vgpr11
	s_waitcnt lgkmcnt(0)
	v_mad_u64_u32 v[1:2], s[0:1], s2, v7, v[1:2]
	s_mov_b32 s0, 0x2828283
	v_mul_lo_u32 v3, s2, v8
	v_mul_lo_u32 v4, s3, v7
	v_mul_hi_u32 v5, v0, s0
	v_cmp_gt_u64_e32 vcc, s[6:7], v[7:8]
                                        ; implicit-def: $vgpr6_vgpr7
	v_add3_u32 v2, v4, v2, v3
	v_mul_u32_u24_e32 v3, 0x66, v5
	v_sub_u32_e32 v84, v0, v3
	v_cmp_gt_u32_e64 s[0:1], 54, v84
	v_lshlrev_b64 v[86:87], 4, v[1:2]
	s_and_b64 s[2:3], vcc, s[0:1]
                                        ; implicit-def: $vgpr2_vgpr3
	s_and_saveexec_b64 s[4:5], s[2:3]
	s_cbranch_execz .LBB0_11
; %bb.10:
	v_mad_u64_u32 v[0:1], s[2:3], s12, v84, 0
	v_add_u32_e32 v5, 54, v84
	v_mov_b32_e32 v4, s15
	v_mad_u64_u32 v[1:2], s[2:3], s13, v84, v[1:2]
	v_mad_u64_u32 v[2:3], s[2:3], s12, v5, 0
	v_add_co_u32_e64 v16, s[2:3], s14, v86
	v_addc_co_u32_e64 v17, s[2:3], v4, v87, s[2:3]
	v_mad_u64_u32 v[3:4], s[2:3], s13, v5, v[3:4]
	v_add_u32_e32 v6, 0x6c, v84
	v_mad_u64_u32 v[4:5], s[2:3], s12, v6, 0
	v_lshlrev_b64 v[0:1], 4, v[0:1]
	v_add_u32_e32 v8, 0xa2, v84
	v_add_co_u32_e64 v0, s[2:3], v16, v0
	v_addc_co_u32_e64 v1, s[2:3], v17, v1, s[2:3]
	v_mad_u64_u32 v[5:6], s[2:3], s13, v6, v[5:6]
	v_mad_u64_u32 v[6:7], s[2:3], s12, v8, 0
	v_lshlrev_b64 v[2:3], 4, v[2:3]
	v_add_u32_e32 v10, 0xd8, v84
	v_add_co_u32_e64 v2, s[2:3], v16, v2
	v_addc_co_u32_e64 v3, s[2:3], v17, v3, s[2:3]
	v_mad_u64_u32 v[7:8], s[2:3], s13, v8, v[7:8]
	v_mad_u64_u32 v[8:9], s[2:3], s12, v10, 0
	v_lshlrev_b64 v[4:5], 4, v[4:5]
	v_add_co_u32_e64 v12, s[2:3], v16, v4
	v_addc_co_u32_e64 v13, s[2:3], v17, v5, s[2:3]
	v_lshlrev_b64 v[4:5], 4, v[6:7]
	v_mov_b32_e32 v6, v9
	v_mad_u64_u32 v[6:7], s[2:3], s13, v10, v[6:7]
	v_add_u32_e32 v7, 0x10e, v84
	v_mad_u64_u32 v[10:11], s[2:3], s12, v7, 0
	v_add_co_u32_e64 v14, s[2:3], v16, v4
	v_mov_b32_e32 v9, v6
	v_mov_b32_e32 v6, v11
	v_addc_co_u32_e64 v15, s[2:3], v17, v5, s[2:3]
	v_lshlrev_b64 v[4:5], 4, v[8:9]
	v_mad_u64_u32 v[6:7], s[2:3], s13, v7, v[6:7]
	v_add_u32_e32 v9, 0x144, v84
	v_mad_u64_u32 v[7:8], s[2:3], s12, v9, 0
	v_add_co_u32_e64 v68, s[2:3], v16, v4
	v_mov_b32_e32 v11, v6
	v_mov_b32_e32 v6, v8
	v_addc_co_u32_e64 v69, s[2:3], v17, v5, s[2:3]
	v_lshlrev_b64 v[4:5], 4, v[10:11]
	v_mad_u64_u32 v[8:9], s[2:3], s13, v9, v[6:7]
	v_add_u32_e32 v11, 0x17a, v84
	v_mad_u64_u32 v[9:10], s[2:3], s12, v11, 0
	v_add_co_u32_e64 v70, s[2:3], v16, v4
	v_mov_b32_e32 v6, v10
	v_addc_co_u32_e64 v71, s[2:3], v17, v5, s[2:3]
	v_lshlrev_b64 v[4:5], 4, v[7:8]
	v_mad_u64_u32 v[6:7], s[2:3], s13, v11, v[6:7]
	v_add_u32_e32 v11, 0x1b0, v84
	v_mad_u64_u32 v[7:8], s[2:3], s12, v11, 0
	v_add_co_u32_e64 v72, s[2:3], v16, v4
	v_mov_b32_e32 v10, v6
	v_mov_b32_e32 v6, v8
	v_addc_co_u32_e64 v73, s[2:3], v17, v5, s[2:3]
	v_lshlrev_b64 v[4:5], 4, v[9:10]
	v_mad_u64_u32 v[8:9], s[2:3], s13, v11, v[6:7]
	v_add_u32_e32 v11, 0x1e6, v84
	v_mad_u64_u32 v[9:10], s[2:3], s12, v11, 0
	v_add_co_u32_e64 v74, s[2:3], v16, v4
	;; [unrolled: 15-line block ×5, first 2 shown]
	v_mov_b32_e32 v6, v10
	v_addc_co_u32_e64 v91, s[2:3], v17, v5, s[2:3]
	v_lshlrev_b64 v[4:5], 4, v[7:8]
	v_mad_u64_u32 v[6:7], s[2:3], s13, v11, v[6:7]
	v_add_u32_e32 v11, 0x360, v84
	v_mad_u64_u32 v[7:8], s[2:3], s12, v11, 0
	v_add_co_u32_e64 v92, s[2:3], v16, v4
	v_mov_b32_e32 v10, v6
	v_mov_b32_e32 v6, v8
	v_addc_co_u32_e64 v93, s[2:3], v17, v5, s[2:3]
	v_lshlrev_b64 v[4:5], 4, v[9:10]
	v_mad_u64_u32 v[8:9], s[2:3], s13, v11, v[6:7]
	v_add_co_u32_e64 v94, s[2:3], v16, v4
	v_addc_co_u32_e64 v95, s[2:3], v17, v5, s[2:3]
	v_lshlrev_b64 v[4:5], 4, v[7:8]
	v_add_co_u32_e64 v96, s[2:3], v16, v4
	v_addc_co_u32_e64 v97, s[2:3], v17, v5, s[2:3]
	global_load_dwordx4 v[8:11], v[0:1], off
	global_load_dwordx4 v[64:67], v[2:3], off
	;; [unrolled: 1-line block ×15, first 2 shown]
                                        ; kill: killed $vgpr74 killed $vgpr75
                                        ; kill: killed $vgpr76 killed $vgpr77
                                        ; kill: killed $vgpr0 killed $vgpr1
                                        ; kill: killed $vgpr78 killed $vgpr79
                                        ; kill: killed $vgpr2 killed $vgpr3
                                        ; kill: killed $vgpr80 killed $vgpr81
                                        ; kill: killed $vgpr12 killed $vgpr13
                                        ; kill: killed $vgpr82 killed $vgpr83
                                        ; kill: killed $vgpr14 killed $vgpr15
                                        ; kill: killed $vgpr88 killed $vgpr89
                                        ; kill: killed $vgpr68 killed $vgpr69
                                        ; kill: killed $vgpr90 killed $vgpr91
                                        ; kill: killed $vgpr70 killed $vgpr71
                                        ; kill: killed $vgpr92 killed $vgpr93
                                        ; kill: killed $vgpr72 killed $vgpr73
	global_load_dwordx4 v[12:15], v[94:95], off
	global_load_dwordx4 v[0:3], v[96:97], off
.LBB0_11:
	s_or_b64 exec, exec, s[4:5]
	s_waitcnt vmcnt(0)
	v_add_f64 v[68:69], v[0:1], v[64:65]
	s_mov_b32 s2, 0x7faef3
	s_mov_b32 s3, 0xbfef7484
	v_add_f64 v[72:73], v[66:67], -v[2:3]
	v_add_f64 v[70:71], v[12:13], v[60:61]
	s_mov_b32 s20, 0xacd6c6b4
	s_mov_b32 s4, 0x370991
	;; [unrolled: 1-line block ×3, first 2 shown]
	v_mul_f64 v[114:115], v[68:69], s[2:3]
	s_mov_b32 s5, 0x3fedd6d0
	v_add_f64 v[74:75], v[62:63], -v[14:15]
	v_add_f64 v[76:77], v[4:5], v[56:57]
	v_mul_f64 v[120:121], v[70:71], s[4:5]
	s_mov_b32 s22, 0x5d8e7cdc
	s_mov_b32 s6, 0x910ea3b9
	;; [unrolled: 1-line block ×3, first 2 shown]
	v_fma_f64 v[82:83], v[72:73], s[20:21], v[114:115]
	s_mov_b32 s7, 0xbfeb34fa
	v_add_f64 v[80:81], v[58:59], -v[6:7]
	v_add_f64 v[78:79], v[16:17], v[52:53]
	v_mul_f64 v[116:117], v[76:77], s[6:7]
	v_fma_f64 v[88:89], v[74:75], s[22:23], v[120:121]
	s_mov_b32 s26, 0x4363dd80
	s_mov_b32 s10, 0x75d4884
	v_add_f64 v[92:93], v[8:9], v[82:83]
	s_mov_b32 s27, 0xbfe0d888
	s_mov_b32 s11, 0x3fe7a5f6
	v_add_f64 v[90:91], v[54:55], -v[18:19]
	v_add_f64 v[82:83], v[20:21], v[48:49]
	v_mul_f64 v[108:109], v[78:79], s[10:11]
	v_fma_f64 v[94:95], v[80:81], s[26:27], v[116:117]
	s_mov_b32 s30, 0x2a9d6da3
	v_add_f64 v[88:89], v[88:89], v[92:93]
	s_mov_b32 s16, 0x6ed5f1bb
	s_mov_b32 s31, 0x3fe58eea
	;; [unrolled: 1-line block ×3, first 2 shown]
	v_add_f64 v[92:93], v[24:25], v[44:45]
	v_add_f64 v[98:99], v[50:51], -v[22:23]
	v_mul_f64 v[110:111], v[82:83], s[16:17]
	v_fma_f64 v[100:101], v[90:91], s[30:31], v[108:109]
	v_add_f64 v[88:89], v[94:95], v[88:89]
	s_mov_b32 s18, 0x2b2883cd
	s_mov_b32 s34, 0x6c9a05f6
	;; [unrolled: 1-line block ×4, first 2 shown]
	v_add_f64 v[96:97], v[46:47], -v[26:27]
	v_mul_f64 v[112:113], v[92:93], s[18:19]
	v_add_f64 v[94:95], v[28:29], v[40:41]
	v_add_f64 v[88:89], v[100:101], v[88:89]
	v_fma_f64 v[100:101], v[98:99], s[34:35], v[110:111]
	s_mov_b32 s36, 0x7c9e640b
	s_mov_b32 s24, 0xc61f0d01
	;; [unrolled: 1-line block ×4, first 2 shown]
	v_fma_f64 v[104:105], v[96:97], s[36:37], v[112:113]
	v_add_f64 v[102:103], v[42:43], -v[30:31]
	v_mul_f64 v[118:119], v[94:95], s[24:25]
	v_add_f64 v[88:89], v[100:101], v[88:89]
	v_add_f64 v[100:101], v[32:33], v[36:37]
	s_mov_b32 s38, 0x923c349f
	s_mov_b32 s28, 0x3259b75e
	;; [unrolled: 1-line block ×5, first 2 shown]
	v_fma_f64 v[122:123], v[102:103], s[38:39], v[118:119]
	v_add_f64 v[88:89], v[104:105], v[88:89]
	v_add_f64 v[104:105], v[38:39], -v[34:35]
	v_mul_f64 v[106:107], v[100:101], s[28:29]
	s_mov_b32 s41, 0x3fefdd0d
	v_add_f64 v[88:89], v[122:123], v[88:89]
	v_fma_f64 v[122:123], v[104:105], s[40:41], v[106:107]
	v_add_f64 v[88:89], v[122:123], v[88:89]
	s_and_saveexec_b64 s[42:43], s[0:1]
	s_cbranch_execz .LBB0_13
; %bb.12:
	v_mul_f64 v[122:123], v[72:73], s[20:21]
	v_mul_f64 v[132:133], v[74:75], s[22:23]
	;; [unrolled: 1-line block ×5, first 2 shown]
	s_mov_b32 s45, 0xbfefdd0d
	s_mov_b32 s44, s40
	v_mul_f64 v[128:129], v[96:97], s[36:37]
	v_add_f64 v[114:115], v[114:115], -v[122:123]
	v_mul_f64 v[122:123], v[80:81], s[26:27]
	v_add_f64 v[120:121], v[120:121], -v[132:133]
	v_fma_f64 v[132:133], v[68:69], s[6:7], v[134:135]
	v_fma_f64 v[134:135], v[68:69], s[6:7], -v[134:135]
	v_mul_f64 v[140:141], v[80:81], s[44:45]
	v_add_f64 v[108:109], v[108:109], -v[136:137]
	s_mov_b32 s55, 0x3fe9895b
	v_add_f64 v[114:115], v[8:9], v[114:115]
	v_add_f64 v[116:117], v[116:117], -v[122:123]
	v_fma_f64 v[122:123], v[70:71], s[18:19], v[138:139]
	v_fma_f64 v[138:139], v[70:71], s[18:19], -v[138:139]
	v_add_f64 v[132:133], v[8:9], v[132:133]
	v_add_f64 v[134:135], v[8:9], v[134:135]
	s_mov_b32 s54, s34
	s_mov_b32 s47, 0x3feec746
	v_add_f64 v[114:115], v[120:121], v[114:115]
	v_mul_f64 v[120:121], v[72:73], s[34:35]
	s_mov_b32 s46, s38
	v_mul_f64 v[126:127], v[102:103], s[38:39]
	v_mul_f64 v[130:131], v[98:99], s[34:35]
	v_fma_f64 v[136:137], v[76:77], s[28:29], v[140:141]
	v_fma_f64 v[140:141], v[76:77], s[28:29], -v[140:141]
	v_add_f64 v[122:123], v[122:123], v[132:133]
	v_add_f64 v[114:115], v[116:117], v[114:115]
	;; [unrolled: 1-line block ×3, first 2 shown]
	v_mul_f64 v[116:117], v[90:91], s[54:55]
	v_add_f64 v[112:113], v[112:113], -v[128:129]
	v_mul_f64 v[128:129], v[74:75], s[46:47]
	s_mov_b32 s49, 0xbfd71e95
	s_mov_b32 s48, s22
	v_add_f64 v[118:119], v[118:119], -v[126:127]
	v_add_f64 v[108:109], v[108:109], v[114:115]
	v_fma_f64 v[114:115], v[68:69], s[16:17], v[120:121]
	v_fma_f64 v[120:121], v[68:69], s[16:17], -v[120:121]
	v_add_f64 v[110:111], v[110:111], -v[130:131]
	v_add_f64 v[122:123], v[136:137], v[122:123]
	v_add_f64 v[126:127], v[140:141], v[132:133]
	v_fma_f64 v[130:131], v[78:79], s[16:17], v[116:117]
	v_fma_f64 v[116:117], v[78:79], s[16:17], -v[116:117]
	v_mul_f64 v[132:133], v[98:99], s[48:49]
	v_add_f64 v[114:115], v[8:9], v[114:115]
	v_fma_f64 v[134:135], v[70:71], s[24:25], v[128:129]
	v_fma_f64 v[128:129], v[70:71], s[24:25], -v[128:129]
	v_add_f64 v[120:121], v[8:9], v[120:121]
	v_mul_f64 v[136:137], v[80:81], s[48:49]
	v_mul_f64 v[124:125], v[104:105], s[40:41]
	v_add_f64 v[122:123], v[130:131], v[122:123]
	v_add_f64 v[116:117], v[116:117], v[126:127]
	v_fma_f64 v[126:127], v[82:83], s[4:5], v[132:133]
	v_add_f64 v[108:109], v[110:111], v[108:109]
	v_add_f64 v[110:111], v[134:135], v[114:115]
	v_mul_f64 v[114:115], v[96:97], s[20:21]
	v_add_f64 v[120:121], v[128:129], v[120:121]
	v_fma_f64 v[128:129], v[76:77], s[4:5], v[136:137]
	v_fma_f64 v[130:131], v[76:77], s[4:5], -v[136:137]
	v_mul_f64 v[134:135], v[90:91], s[26:27]
	v_add_f64 v[122:123], v[126:127], v[122:123]
	v_fma_f64 v[126:127], v[82:83], s[4:5], -v[132:133]
	v_add_f64 v[108:109], v[112:113], v[108:109]
	v_fma_f64 v[112:113], v[92:93], s[2:3], v[114:115]
	v_mul_f64 v[132:133], v[102:103], s[30:31]
	v_add_f64 v[110:111], v[128:129], v[110:111]
	v_add_f64 v[120:121], v[130:131], v[120:121]
	v_fma_f64 v[128:129], v[78:79], s[6:7], v[134:135]
	v_fma_f64 v[130:131], v[78:79], s[6:7], -v[134:135]
	v_add_f64 v[106:107], v[106:107], -v[124:125]
	v_mul_f64 v[124:125], v[98:99], s[40:41]
	s_mov_b32 s51, 0xbfe58eea
	s_mov_b32 s50, s30
	v_add_f64 v[116:117], v[126:127], v[116:117]
	v_add_f64 v[112:113], v[112:113], v[122:123]
	;; [unrolled: 1-line block ×3, first 2 shown]
	v_fma_f64 v[118:119], v[94:95], s[10:11], v[132:133]
	v_add_f64 v[110:111], v[128:129], v[110:111]
	v_add_f64 v[120:121], v[130:131], v[120:121]
	v_fma_f64 v[114:115], v[92:93], s[2:3], -v[114:115]
	v_fma_f64 v[122:123], v[82:83], s[28:29], v[124:125]
	v_fma_f64 v[124:125], v[82:83], s[28:29], -v[124:125]
	v_mul_f64 v[126:127], v[96:97], s[50:51]
	v_add_f64 v[106:107], v[106:107], v[108:109]
	v_add_f64 v[112:113], v[118:119], v[112:113]
	v_fma_f64 v[118:119], v[94:95], s[10:11], -v[132:133]
	s_mov_b32 s53, 0x3fe0d888
	v_add_f64 v[108:109], v[114:115], v[116:117]
	v_add_f64 v[110:111], v[122:123], v[110:111]
	;; [unrolled: 1-line block ×3, first 2 shown]
	v_fma_f64 v[120:121], v[92:93], s[10:11], v[126:127]
	v_mul_f64 v[122:123], v[104:105], s[38:39]
	v_mul_f64 v[114:115], v[72:73], s[38:39]
	s_mov_b32 s52, s26
	v_mul_f64 v[128:129], v[74:75], s[52:53]
	v_add_f64 v[118:119], v[118:119], v[108:109]
	v_fma_f64 v[126:127], v[92:93], s[10:11], -v[126:127]
	s_mov_b32 s57, 0xbfeca52d
	v_add_f64 v[120:121], v[120:121], v[110:111]
	v_fma_f64 v[108:109], v[100:101], s[24:25], v[122:123]
	v_fma_f64 v[110:111], v[100:101], s[24:25], -v[122:123]
	v_mul_f64 v[122:123], v[102:103], s[20:21]
	v_fma_f64 v[124:125], v[68:69], s[24:25], v[114:115]
	v_fma_f64 v[114:115], v[68:69], s[24:25], -v[114:115]
	v_fma_f64 v[130:131], v[70:71], s[6:7], v[128:129]
	v_add_f64 v[116:117], v[126:127], v[116:117]
	v_mul_f64 v[126:127], v[80:81], s[30:31]
	v_add_f64 v[108:109], v[108:109], v[112:113]
	v_fma_f64 v[128:129], v[70:71], s[6:7], -v[128:129]
	v_fma_f64 v[112:113], v[94:95], s[2:3], v[122:123]
	v_add_f64 v[124:125], v[8:9], v[124:125]
	v_add_f64 v[114:115], v[8:9], v[114:115]
	s_mov_b32 s56, s36
	v_add_f64 v[110:111], v[110:111], v[118:119]
	v_mul_f64 v[118:119], v[104:105], s[36:37]
	v_mul_f64 v[132:133], v[90:91], s[56:57]
	;; [unrolled: 1-line block ×3, first 2 shown]
	v_add_f64 v[112:113], v[112:113], v[120:121]
	v_fma_f64 v[120:121], v[94:95], s[2:3], -v[122:123]
	v_mul_f64 v[122:123], v[72:73], s[44:45]
	v_add_f64 v[124:125], v[130:131], v[124:125]
	v_fma_f64 v[130:131], v[76:77], s[10:11], v[126:127]
	v_add_f64 v[114:115], v[128:129], v[114:115]
	v_fma_f64 v[126:127], v[76:77], s[10:11], -v[126:127]
	v_fma_f64 v[128:129], v[100:101], s[18:19], v[118:119]
	v_mul_f64 v[134:135], v[98:99], s[20:21]
	v_add_f64 v[116:117], v[120:121], v[116:117]
	v_fma_f64 v[120:121], v[68:69], s[28:29], v[122:123]
	v_mul_f64 v[138:139], v[80:81], s[46:47]
	v_add_f64 v[124:125], v[130:131], v[124:125]
	v_fma_f64 v[130:131], v[78:79], s[18:19], v[132:133]
	v_add_f64 v[114:115], v[126:127], v[114:115]
	v_fma_f64 v[126:127], v[78:79], s[18:19], -v[132:133]
	v_fma_f64 v[132:133], v[70:71], s[2:3], v[136:137]
	v_add_f64 v[112:113], v[128:129], v[112:113]
	v_add_f64 v[120:121], v[8:9], v[120:121]
	v_fma_f64 v[128:129], v[82:83], s[2:3], v[134:135]
	v_mul_f64 v[140:141], v[90:91], s[22:23]
	v_add_f64 v[124:125], v[130:131], v[124:125]
	v_mul_f64 v[130:131], v[96:97], s[40:41]
	v_add_f64 v[114:115], v[126:127], v[114:115]
	v_fma_f64 v[126:127], v[82:83], s[2:3], -v[134:135]
	v_fma_f64 v[118:119], v[100:101], s[18:19], -v[118:119]
	v_add_f64 v[120:121], v[132:133], v[120:121]
	v_fma_f64 v[132:133], v[76:77], s[24:25], v[138:139]
	v_mul_f64 v[134:135], v[102:103], s[48:49]
	v_add_f64 v[124:125], v[128:129], v[124:125]
	v_fma_f64 v[128:129], v[92:93], s[28:29], v[130:131]
	v_fma_f64 v[122:123], v[68:69], s[28:29], -v[122:123]
	v_add_f64 v[114:115], v[126:127], v[114:115]
	v_fma_f64 v[126:127], v[92:93], s[28:29], -v[130:131]
	v_fma_f64 v[130:131], v[78:79], s[4:5], v[140:141]
	v_add_f64 v[120:121], v[132:133], v[120:121]
	v_mul_f64 v[132:133], v[98:99], s[56:57]
	v_add_f64 v[116:117], v[118:119], v[116:117]
	v_add_f64 v[118:119], v[128:129], v[124:125]
	v_fma_f64 v[124:125], v[94:95], s[4:5], v[134:135]
	v_mul_f64 v[128:129], v[104:105], s[34:35]
	v_fma_f64 v[136:137], v[70:71], s[2:3], -v[136:137]
	v_add_f64 v[122:123], v[8:9], v[122:123]
	v_add_f64 v[120:121], v[130:131], v[120:121]
	v_fma_f64 v[130:131], v[82:83], s[18:19], v[132:133]
	v_add_f64 v[114:115], v[126:127], v[114:115]
	v_fma_f64 v[126:127], v[94:95], s[4:5], -v[134:135]
	v_add_f64 v[118:119], v[124:125], v[118:119]
	v_fma_f64 v[124:125], v[100:101], s[16:17], v[128:129]
	v_mul_f64 v[134:135], v[72:73], s[56:57]
	v_add_f64 v[122:123], v[136:137], v[122:123]
	v_mul_f64 v[142:143], v[74:75], s[34:35]
	v_add_f64 v[120:121], v[130:131], v[120:121]
	v_fma_f64 v[130:131], v[76:77], s[24:25], -v[138:139]
	v_add_f64 v[114:115], v[126:127], v[114:115]
	v_mul_f64 v[126:127], v[96:97], s[26:27]
	v_add_f64 v[118:119], v[124:125], v[118:119]
	v_fma_f64 v[124:125], v[68:69], s[18:19], v[134:135]
	v_fma_f64 v[134:135], v[68:69], s[18:19], -v[134:135]
	v_mul_f64 v[138:139], v[102:103], s[54:55]
	s_mov_b32 s55, 0x3fc7851a
	v_add_f64 v[122:123], v[130:131], v[122:123]
	v_fma_f64 v[130:131], v[78:79], s[4:5], -v[140:141]
	s_mov_b32 s54, s20
	v_fma_f64 v[136:137], v[92:93], s[6:7], v[126:127]
	v_add_f64 v[124:125], v[8:9], v[124:125]
	v_fma_f64 v[144:145], v[70:71], s[16:17], v[142:143]
	v_mul_f64 v[146:147], v[80:81], s[54:55]
	v_add_f64 v[134:135], v[8:9], v[134:135]
	v_fma_f64 v[128:129], v[100:101], s[16:17], -v[128:129]
	v_add_f64 v[122:123], v[130:131], v[122:123]
	v_fma_f64 v[130:131], v[82:83], s[18:19], -v[132:133]
	v_fma_f64 v[132:133], v[70:71], s[16:17], -v[142:143]
	v_add_f64 v[120:121], v[136:137], v[120:121]
	v_fma_f64 v[136:137], v[94:95], s[16:17], v[138:139]
	v_add_f64 v[124:125], v[144:145], v[124:125]
	v_fma_f64 v[144:145], v[76:77], s[2:3], v[146:147]
	v_mul_f64 v[148:149], v[90:91], s[46:47]
	v_mul_f64 v[140:141], v[104:105], s[30:31]
	v_add_f64 v[122:123], v[130:131], v[122:123]
	v_add_f64 v[130:131], v[132:133], v[134:135]
	v_fma_f64 v[132:133], v[76:77], s[2:3], -v[146:147]
	v_add_f64 v[134:135], v[64:65], v[8:9]
	v_add_f64 v[114:115], v[128:129], v[114:115]
	;; [unrolled: 1-line block ×4, first 2 shown]
	v_fma_f64 v[128:129], v[78:79], s[24:25], v[148:149]
	v_mul_f64 v[136:137], v[98:99], s[30:31]
	v_fma_f64 v[142:143], v[100:101], s[10:11], v[140:141]
	v_add_f64 v[130:131], v[132:133], v[130:131]
	v_add_f64 v[132:133], v[60:61], v[134:135]
	v_fma_f64 v[126:127], v[92:93], s[6:7], -v[126:127]
	v_mul_f64 v[144:145], v[72:73], s[50:51]
	v_fma_f64 v[134:135], v[78:79], s[24:25], -v[148:149]
	v_add_f64 v[124:125], v[128:129], v[124:125]
	v_fma_f64 v[128:129], v[82:83], s[10:11], v[136:137]
	v_add_f64 v[120:121], v[142:143], v[120:121]
	v_mul_f64 v[142:143], v[96:97], s[48:49]
	v_add_f64 v[132:133], v[56:57], v[132:133]
	v_add_f64 v[122:123], v[126:127], v[122:123]
	v_fma_f64 v[126:127], v[68:69], s[10:11], v[144:145]
	v_add_f64 v[130:131], v[134:135], v[130:131]
	v_fma_f64 v[134:135], v[82:83], s[10:11], -v[136:137]
	v_add_f64 v[124:125], v[128:129], v[124:125]
	v_mul_f64 v[128:129], v[74:75], s[44:45]
	v_fma_f64 v[146:147], v[92:93], s[4:5], v[142:143]
	v_add_f64 v[132:133], v[52:53], v[132:133]
	v_mul_f64 v[148:149], v[102:103], s[44:45]
	v_fma_f64 v[136:137], v[94:95], s[16:17], -v[138:139]
	v_add_f64 v[126:127], v[8:9], v[126:127]
	v_mul_f64 v[150:151], v[80:81], s[34:35]
	v_add_f64 v[130:131], v[134:135], v[130:131]
	v_fma_f64 v[138:139], v[70:71], s[28:29], v[128:129]
	v_fma_f64 v[134:135], v[68:69], s[10:11], -v[144:145]
	v_add_f64 v[132:133], v[48:49], v[132:133]
	v_add_f64 v[124:125], v[146:147], v[124:125]
	v_fma_f64 v[146:147], v[94:95], s[28:29], v[148:149]
	v_add_f64 v[122:123], v[136:137], v[122:123]
	v_mul_f64 v[136:137], v[90:91], s[20:21]
	v_fma_f64 v[128:129], v[70:71], s[28:29], -v[128:129]
	v_add_f64 v[126:127], v[138:139], v[126:127]
	v_fma_f64 v[138:139], v[76:77], s[16:17], v[150:151]
	v_add_f64 v[134:135], v[8:9], v[134:135]
	v_mul_f64 v[72:73], v[72:73], s[48:49]
	v_add_f64 v[132:133], v[44:45], v[132:133]
	v_add_f64 v[124:125], v[146:147], v[124:125]
	v_mul_f64 v[74:75], v[74:75], s[50:51]
	v_mul_f64 v[80:81], v[80:81], s[56:57]
	;; [unrolled: 1-line block ×3, first 2 shown]
	v_add_f64 v[126:127], v[138:139], v[126:127]
	v_fma_f64 v[138:139], v[78:79], s[2:3], v[136:137]
	v_add_f64 v[128:129], v[128:129], v[134:135]
	v_fma_f64 v[134:135], v[76:77], s[16:17], -v[150:151]
	v_fma_f64 v[146:147], v[68:69], s[4:5], -v[72:73]
	v_add_f64 v[132:133], v[40:41], v[132:133]
	v_fma_f64 v[68:69], v[68:69], s[4:5], v[72:73]
	v_fma_f64 v[142:143], v[92:93], s[4:5], -v[142:143]
	v_fma_f64 v[136:137], v[78:79], s[2:3], -v[136:137]
	v_add_f64 v[126:127], v[138:139], v[126:127]
	v_fma_f64 v[144:145], v[94:95], s[28:29], -v[148:149]
	v_add_f64 v[128:129], v[134:135], v[128:129]
	;; [unrolled: 2-line block ×3, first 2 shown]
	v_add_f64 v[132:133], v[36:37], v[132:133]
	v_add_f64 v[8:9], v[8:9], v[68:69]
	v_fma_f64 v[68:69], v[70:71], s[10:11], v[74:75]
	v_fma_f64 v[74:75], v[76:77], s[18:19], -v[80:81]
	v_add_f64 v[130:131], v[142:143], v[130:131]
	v_mul_f64 v[142:143], v[98:99], s[52:53]
	v_mul_f64 v[98:99], v[98:99], s[38:39]
	v_add_f64 v[134:135], v[134:135], v[138:139]
	v_add_f64 v[132:133], v[32:33], v[132:133]
	v_mul_f64 v[70:71], v[96:97], s[46:47]
	v_add_f64 v[8:9], v[68:69], v[8:9]
	v_fma_f64 v[68:69], v[76:77], s[18:19], v[80:81]
	v_fma_f64 v[76:77], v[78:79], s[28:29], -v[90:91]
	v_fma_f64 v[78:79], v[78:79], s[28:29], v[90:91]
	v_mul_f64 v[90:91], v[96:97], s[34:35]
	v_add_f64 v[74:75], v[74:75], v[134:135]
	v_add_f64 v[80:81], v[28:29], v[132:133]
	v_fma_f64 v[72:73], v[82:83], s[6:7], v[142:143]
	v_add_f64 v[128:129], v[136:137], v[128:129]
	v_add_f64 v[8:9], v[68:69], v[8:9]
	v_fma_f64 v[136:137], v[82:83], s[6:7], -v[142:143]
	v_mul_f64 v[68:69], v[102:103], s[36:37]
	s_movk_i32 s33, 0x88
	v_add_f64 v[74:75], v[76:77], v[74:75]
	v_add_f64 v[76:77], v[24:25], v[80:81]
	v_fma_f64 v[80:81], v[82:83], s[24:25], -v[98:99]
	v_add_f64 v[72:73], v[72:73], v[126:127]
	v_add_f64 v[8:9], v[78:79], v[8:9]
	v_fma_f64 v[78:79], v[82:83], s[24:25], v[98:99]
	v_mul_f64 v[82:83], v[102:103], s[26:27]
	v_add_f64 v[126:127], v[136:137], v[128:129]
	v_fma_f64 v[128:129], v[92:93], s[24:25], -v[70:71]
	v_add_f64 v[76:77], v[20:21], v[76:77]
	v_add_f64 v[74:75], v[80:81], v[74:75]
	v_fma_f64 v[80:81], v[92:93], s[16:17], -v[90:91]
	v_fma_f64 v[70:71], v[92:93], s[24:25], v[70:71]
	v_fma_f64 v[90:91], v[92:93], s[16:17], v[90:91]
	v_add_f64 v[8:9], v[78:79], v[8:9]
	v_fma_f64 v[78:79], v[94:95], s[6:7], -v[82:83]
	v_mul_f64 v[92:93], v[104:105], s[20:21]
	v_add_f64 v[76:77], v[16:17], v[76:77]
	v_add_f64 v[96:97], v[128:129], v[126:127]
	;; [unrolled: 1-line block ×3, first 2 shown]
	v_fma_f64 v[126:127], v[94:95], s[18:19], -v[68:69]
	v_add_f64 v[70:71], v[70:71], v[72:73]
	v_fma_f64 v[68:69], v[94:95], s[18:19], v[68:69]
	v_mul_f64 v[80:81], v[104:105], s[26:27]
	v_fma_f64 v[82:83], v[94:95], s[6:7], v[82:83]
	v_add_f64 v[76:77], v[4:5], v[76:77]
	v_mul_f64 v[94:95], v[104:105], s[22:23]
	v_add_f64 v[8:9], v[90:91], v[8:9]
	v_add_f64 v[74:75], v[78:79], v[74:75]
	v_fma_f64 v[90:91], v[100:101], s[2:3], -v[92:93]
	v_add_f64 v[98:99], v[144:145], v[130:131]
	v_add_f64 v[72:73], v[126:127], v[96:97]
	;; [unrolled: 1-line block ×4, first 2 shown]
	v_fma_f64 v[70:71], v[100:101], s[6:7], -v[80:81]
	v_fma_f64 v[96:97], v[100:101], s[4:5], -v[94:95]
	;; [unrolled: 1-line block ×3, first 2 shown]
	v_fma_f64 v[80:81], v[100:101], s[6:7], v[80:81]
	v_fma_f64 v[94:95], v[100:101], s[4:5], v[94:95]
	v_fma_f64 v[92:93], v[100:101], s[2:3], v[92:93]
	v_add_f64 v[8:9], v[82:83], v[8:9]
	v_add_f64 v[74:75], v[90:91], v[74:75]
	;; [unrolled: 1-line block ×8, first 2 shown]
	v_mad_u32_u24 v82, v84, s33, 0
	v_add_f64 v[8:9], v[92:93], v[8:9]
	ds_write2_b64 v82, v[76:77], v[74:75] offset1:1
	ds_write2_b64 v82, v[72:73], v[70:71] offset0:2 offset1:3
	ds_write2_b64 v82, v[78:79], v[114:115] offset0:4 offset1:5
	;; [unrolled: 1-line block ×7, first 2 shown]
	ds_write_b64 v82, v[8:9] offset:128
.LBB0_13:
	s_or_b64 exec, exec, s[42:43]
	v_add_f64 v[112:113], v[64:65], -v[0:1]
	v_add_f64 v[106:107], v[2:3], v[66:67]
	v_add_f64 v[110:111], v[60:61], -v[12:13]
	v_add_f64 v[102:103], v[14:15], v[62:63]
	;; [unrolled: 2-line block ×4, first 2 shown]
	v_mul_f64 v[108:109], v[112:113], s[20:21]
	v_add_f64 v[64:65], v[48:49], -v[20:21]
	v_mul_f64 v[104:105], v[110:111], s[22:23]
	v_add_f64 v[52:53], v[22:23], v[50:51]
	v_mul_f64 v[98:99], v[100:101], s[26:27]
	v_add_f64 v[48:49], v[44:45], -v[24:25]
	v_mul_f64 v[92:93], v[94:95], s[30:31]
	v_add_f64 v[44:45], v[26:27], v[46:47]
	v_fma_f64 v[0:1], v[106:107], s[2:3], -v[108:109]
	v_mul_f64 v[60:61], v[64:65], s[34:35]
	v_fma_f64 v[4:5], v[102:103], s[4:5], -v[104:105]
	v_add_f64 v[28:29], v[40:41], -v[28:29]
	v_fma_f64 v[8:9], v[96:97], s[6:7], -v[98:99]
	v_mul_f64 v[40:41], v[48:49], s[36:37]
	v_add_f64 v[24:25], v[30:31], v[42:43]
	v_add_f64 v[12:13], v[36:37], -v[32:33]
	v_add_f64 v[0:1], v[10:11], v[0:1]
	v_lshl_add_u32 v114, v84, 3, 0
	v_add_u32_e32 v85, 0x400, v114
	v_mul_f64 v[20:21], v[28:29], s[38:39]
	v_add_u32_e32 v116, 0x800, v114
	v_add_u32_e32 v115, 0x1000, v114
	s_waitcnt lgkmcnt(0)
	s_barrier
	v_add_f64 v[0:1], v[4:5], v[0:1]
	v_fma_f64 v[4:5], v[90:91], s[10:11], -v[92:93]
	v_fma_f64 v[32:33], v[24:25], s[24:25], -v[20:21]
	ds_read2_b64 v[68:71], v114 offset1:102
	ds_read2_b64 v[80:83], v85 offset0:76 offset1:178
	ds_read2_b64 v[72:75], v116 offset0:152 offset1:254
	v_add_f64 v[0:1], v[8:9], v[0:1]
	v_fma_f64 v[8:9], v[52:53], s[16:17], -v[60:61]
	v_add_f64 v[0:1], v[4:5], v[0:1]
	v_fma_f64 v[4:5], v[44:45], s[18:19], -v[40:41]
	v_add_f64 v[16:17], v[8:9], v[0:1]
	v_add_f64 v[0:1], v[34:35], v[38:39]
	v_mul_f64 v[8:9], v[12:13], s[40:41]
	v_add_f64 v[4:5], v[4:5], v[16:17]
	v_fma_f64 v[16:17], v[0:1], s[28:29], -v[8:9]
	v_add_f64 v[4:5], v[32:33], v[4:5]
	v_add_f64 v[56:57], v[16:17], v[4:5]
	ds_read2_b64 v[76:79], v115 offset0:100 offset1:202
	ds_read_b64 v[4:5], v114 offset:6528
	s_waitcnt lgkmcnt(0)
	s_barrier
	s_and_saveexec_b64 s[20:21], s[0:1]
	s_cbranch_execz .LBB0_15
; %bb.14:
	v_add_f64 v[16:17], v[66:67], v[10:11]
	s_mov_b32 s22, 0x5d8e7cdc
	s_mov_b32 s36, 0x2a9d6da3
	;; [unrolled: 1-line block ×7, first 2 shown]
	v_add_f64 v[62:63], v[62:63], v[16:17]
	s_mov_b32 s31, 0xbfefdd0d
	v_mul_f64 v[66:67], v[106:107], s[2:3]
	v_mul_f64 v[121:122], v[90:91], s[10:11]
	;; [unrolled: 1-line block ×3, first 2 shown]
	s_mov_b32 s0, 0x75d4884
	s_mov_b32 s2, 0x2b2883cd
	;; [unrolled: 1-line block ×3, first 2 shown]
	v_add_f64 v[58:59], v[58:59], v[62:63]
	s_mov_b32 s18, 0x6c9a05f6
	s_mov_b32 s40, 0xacd6c6b4
	;; [unrolled: 1-line block ×7, first 2 shown]
	v_add_f64 v[54:55], v[54:55], v[58:59]
	v_mul_f64 v[58:59], v[112:113], s[30:31]
	v_mul_f64 v[62:63], v[112:113], s[10:11]
	;; [unrolled: 1-line block ×6, first 2 shown]
	v_add_f64 v[66:67], v[66:67], v[108:109]
	v_add_f64 v[50:51], v[50:51], v[54:55]
	v_mul_f64 v[54:55], v[112:113], s[42:43]
	v_fma_f64 v[137:138], v[106:107], s[28:29], v[58:59]
	v_fma_f64 v[58:59], v[106:107], s[28:29], -v[58:59]
	v_mul_f64 v[119:120], v[96:97], s[6:7]
	v_mul_f64 v[32:33], v[24:25], s[24:25]
	s_mov_b32 s6, 0xc61f0d01
	s_mov_b32 s24, 0x910ea3b9
	v_add_f64 v[46:47], v[46:47], v[50:51]
	v_mul_f64 v[50:51], v[112:113], s[36:37]
	v_fma_f64 v[135:136], v[106:107], s[2:3], v[54:55]
	v_fma_f64 v[54:55], v[106:107], s[2:3], -v[54:55]
	s_mov_b32 s38, 0x7faef3
	s_mov_b32 s7, 0xbfd183b1
	;; [unrolled: 1-line block ×4, first 2 shown]
	v_add_f64 v[42:43], v[42:43], v[46:47]
	v_mul_f64 v[46:47], v[112:113], s[22:23]
	s_mov_b32 s51, 0x3fe0d888
	s_mov_b32 s47, 0x3feec746
	;; [unrolled: 1-line block ×6, first 2 shown]
	v_add_f64 v[38:39], v[38:39], v[42:43]
	v_mul_f64 v[42:43], v[112:113], s[26:27]
	v_mul_f64 v[112:113], v[110:111], s[36:37]
	v_fma_f64 v[108:109], v[106:107], s[4:5], v[46:47]
	v_mul_f64 v[133:134], v[110:111], s[46:47]
	v_fma_f64 v[46:47], v[106:107], s[4:5], -v[46:47]
	v_fma_f64 v[139:140], v[106:107], s[6:7], v[62:63]
	v_fma_f64 v[143:144], v[102:103], s[16:17], v[129:130]
	v_add_f64 v[34:35], v[34:35], v[38:39]
	v_mul_f64 v[38:39], v[110:111], s[50:51]
	v_mul_f64 v[110:111], v[110:111], s[34:35]
	v_fma_f64 v[141:142], v[106:107], s[24:25], v[42:43]
	v_fma_f64 v[42:43], v[106:107], s[24:25], -v[42:43]
	v_fma_f64 v[129:130], v[102:103], s[16:17], -v[129:130]
	v_fma_f64 v[145:146], v[102:103], s[38:39], v[131:132]
	v_fma_f64 v[131:132], v[102:103], s[38:39], -v[131:132]
	v_add_f64 v[30:31], v[30:31], v[34:35]
	v_fma_f64 v[34:35], v[106:107], s[0:1], v[50:51]
	v_fma_f64 v[50:51], v[106:107], s[0:1], -v[50:51]
	v_add_f64 v[54:55], v[10:11], v[54:55]
	v_add_f64 v[58:59], v[10:11], v[58:59]
	v_mul_f64 v[117:118], v[102:103], s[4:5]
	v_fma_f64 v[147:148], v[102:103], s[24:25], v[38:39]
	v_add_f64 v[46:47], v[10:11], v[46:47]
	v_add_f64 v[26:27], v[26:27], v[30:31]
	v_fma_f64 v[30:31], v[106:107], s[6:7], -v[62:63]
	v_fma_f64 v[62:63], v[106:107], s[16:17], v[125:126]
	v_fma_f64 v[125:126], v[106:107], s[16:17], -v[125:126]
	v_fma_f64 v[106:107], v[102:103], s[0:1], v[112:113]
	v_add_f64 v[34:35], v[10:11], v[34:35]
	v_add_f64 v[50:51], v[10:11], v[50:51]
	v_fma_f64 v[112:113], v[102:103], s[0:1], -v[112:113]
	v_add_f64 v[22:23], v[22:23], v[26:27]
	v_fma_f64 v[26:27], v[102:103], s[28:29], v[127:128]
	v_fma_f64 v[127:128], v[102:103], s[28:29], -v[127:128]
	v_add_f64 v[30:31], v[10:11], v[30:31]
	v_add_f64 v[62:63], v[10:11], v[62:63]
	;; [unrolled: 1-line block ×3, first 2 shown]
	s_mov_b32 s45, 0x3fc7851a
	s_mov_b32 s44, s40
	v_add_f64 v[18:19], v[18:19], v[22:23]
	v_add_f64 v[22:23], v[10:11], v[66:67]
	;; [unrolled: 1-line block ×6, first 2 shown]
	v_mul_f64 v[54:55], v[100:101], s[42:43]
	v_add_f64 v[108:109], v[10:11], v[135:136]
	v_add_f64 v[6:7], v[6:7], v[18:19]
	;; [unrolled: 1-line block ×8, first 2 shown]
	s_mov_b32 s49, 0x3fd71e95
	v_add_f64 v[6:7], v[14:15], v[6:7]
	v_add_f64 v[14:15], v[106:107], v[66:67]
	v_fma_f64 v[66:67], v[102:103], s[6:7], -v[133:134]
	v_fma_f64 v[106:107], v[102:103], s[2:3], v[110:111]
	s_mov_b32 s48, s22
	v_add_f64 v[46:47], v[143:144], v[108:109]
	s_mov_b32 s53, 0x3fe9895b
	s_mov_b32 s52, s18
	v_add_f64 v[2:3], v[2:3], v[6:7]
	v_add_f64 v[6:7], v[145:146], v[18:19]
	v_fma_f64 v[18:19], v[102:103], s[24:25], -v[38:39]
	v_add_f64 v[38:39], v[131:132], v[58:59]
	v_fma_f64 v[58:59], v[102:103], s[6:7], v[133:134]
	v_fma_f64 v[102:103], v[102:103], s[2:3], -v[110:111]
	v_add_f64 v[92:93], v[121:122], v[92:93]
	v_mul_f64 v[123:124], v[52:53], s[16:17]
	v_add_f64 v[108:109], v[147:148], v[135:136]
	v_add_f64 v[36:37], v[36:37], v[40:41]
	;; [unrolled: 1-line block ×4, first 2 shown]
	v_fma_f64 v[104:105], v[96:97], s[2:3], v[54:55]
	v_add_f64 v[58:59], v[58:59], v[62:63]
	v_add_f64 v[62:63], v[66:67], v[125:126]
	;; [unrolled: 1-line block ×3, first 2 shown]
	v_mul_f64 v[106:107], v[100:101], s[18:19]
	v_fma_f64 v[54:55], v[96:97], s[2:3], -v[54:55]
	v_add_f64 v[10:11], v[102:103], v[10:11]
	v_add_f64 v[22:23], v[30:31], v[22:23]
	;; [unrolled: 1-line block ×3, first 2 shown]
	v_mul_f64 v[30:31], v[100:101], s[44:45]
	s_mov_b32 s45, 0x3fe58eea
	s_mov_b32 s44, s36
	v_fma_f64 v[104:105], v[96:97], s[16:17], -v[106:107]
	v_fma_f64 v[102:103], v[96:97], s[16:17], v[106:107]
	v_add_f64 v[42:43], v[54:55], v[42:43]
	v_mul_f64 v[54:55], v[100:101], s[46:47]
	v_mul_f64 v[106:107], v[100:101], s[44:45]
	v_fma_f64 v[110:111], v[96:97], s[38:39], v[30:31]
	v_fma_f64 v[30:31], v[96:97], s[38:39], -v[30:31]
	v_add_f64 v[22:23], v[98:99], v[22:23]
	v_add_f64 v[34:35], v[104:105], v[34:35]
	v_mul_f64 v[104:105], v[100:101], s[22:23]
	v_add_f64 v[26:27], v[102:103], v[26:27]
	v_fma_f64 v[102:103], v[96:97], s[6:7], v[54:55]
	v_mul_f64 v[100:101], v[100:101], s[30:31]
	v_fma_f64 v[54:55], v[96:97], s[6:7], -v[54:55]
	v_add_f64 v[30:31], v[30:31], v[50:51]
	v_fma_f64 v[112:113], v[96:97], s[0:1], v[106:107]
	v_fma_f64 v[106:107], v[96:97], s[0:1], -v[106:107]
	v_fma_f64 v[50:51], v[96:97], s[4:5], v[104:105]
	v_add_f64 v[46:47], v[110:111], v[46:47]
	v_add_f64 v[6:7], v[102:103], v[6:7]
	v_fma_f64 v[102:103], v[96:97], s[4:5], -v[104:105]
	v_fma_f64 v[104:105], v[96:97], s[28:29], v[100:101]
	v_fma_f64 v[96:97], v[96:97], s[28:29], -v[100:101]
	v_mul_f64 v[100:101], v[94:95], s[30:31]
	v_add_f64 v[18:19], v[106:107], v[18:19]
	v_add_f64 v[50:51], v[50:51], v[58:59]
	v_mul_f64 v[58:59], v[94:95], s[40:41]
	v_mul_f64 v[106:107], v[94:95], s[48:49]
	v_add_f64 v[62:63], v[102:103], v[62:63]
	v_mul_f64 v[102:103], v[94:95], s[46:47]
	v_add_f64 v[10:11], v[96:97], v[10:11]
	v_fma_f64 v[96:97], v[90:91], s[28:29], v[100:101]
	v_fma_f64 v[98:99], v[90:91], s[28:29], -v[100:101]
	v_add_f64 v[38:39], v[54:55], v[38:39]
	v_fma_f64 v[100:101], v[90:91], s[38:39], v[58:59]
	v_fma_f64 v[58:59], v[90:91], s[38:39], -v[58:59]
	v_add_f64 v[66:67], v[104:105], v[66:67]
	v_fma_f64 v[104:105], v[90:91], s[6:7], v[102:103]
	v_add_f64 v[22:23], v[92:93], v[22:23]
	v_add_f64 v[14:15], v[96:97], v[14:15]
	v_mul_f64 v[96:97], v[94:95], s[42:43]
	v_add_f64 v[42:43], v[98:99], v[42:43]
	v_add_f64 v[26:27], v[100:101], v[26:27]
	;; [unrolled: 1-line block ×3, first 2 shown]
	v_fma_f64 v[58:59], v[90:91], s[6:7], -v[102:103]
	v_fma_f64 v[98:99], v[90:91], s[4:5], v[106:107]
	v_fma_f64 v[100:101], v[90:91], s[4:5], -v[106:107]
	v_mul_f64 v[102:103], v[94:95], s[26:27]
	v_mul_f64 v[94:95], v[94:95], s[52:53]
	v_add_f64 v[46:47], v[104:105], v[46:47]
	v_fma_f64 v[104:105], v[90:91], s[2:3], v[96:97]
	v_mul_f64 v[92:93], v[64:65], s[42:43]
	v_add_f64 v[30:31], v[58:59], v[30:31]
	v_fma_f64 v[58:59], v[90:91], s[2:3], -v[96:97]
	v_add_f64 v[6:7], v[98:99], v[6:7]
	v_fma_f64 v[96:97], v[90:91], s[24:25], v[102:103]
	v_add_f64 v[38:39], v[100:101], v[38:39]
	v_fma_f64 v[98:99], v[90:91], s[24:25], -v[102:103]
	v_fma_f64 v[100:101], v[90:91], s[16:17], v[94:95]
	v_mul_f64 v[102:103], v[64:65], s[10:11]
	v_fma_f64 v[90:91], v[90:91], s[16:17], -v[94:95]
	v_add_f64 v[18:19], v[58:59], v[18:19]
	v_mul_f64 v[58:59], v[64:65], s[50:51]
	v_add_f64 v[50:51], v[96:97], v[50:51]
	s_mov_b32 s43, 0x3fefdd0d
	v_add_f64 v[62:63], v[98:99], v[62:63]
	s_mov_b32 s42, s30
	v_fma_f64 v[94:95], v[52:53], s[6:7], v[102:103]
	v_add_f64 v[10:11], v[90:91], v[10:11]
	v_mul_f64 v[90:91], v[64:65], s[44:45]
	v_fma_f64 v[98:99], v[52:53], s[24:25], v[58:59]
	v_fma_f64 v[58:59], v[52:53], s[24:25], -v[58:59]
	v_fma_f64 v[96:97], v[52:53], s[6:7], -v[102:103]
	v_add_f64 v[66:67], v[100:101], v[66:67]
	v_add_f64 v[54:55], v[112:113], v[108:109]
	;; [unrolled: 1-line block ×3, first 2 shown]
	v_mul_f64 v[40:41], v[28:29], s[34:35]
	v_fma_f64 v[94:95], v[52:53], s[0:1], v[90:91]
	v_add_f64 v[26:27], v[98:99], v[26:27]
	v_add_f64 v[34:35], v[58:59], v[34:35]
	v_mul_f64 v[58:59], v[64:65], s[40:41]
	v_add_f64 v[42:43], v[96:97], v[42:43]
	v_fma_f64 v[90:91], v[52:53], s[0:1], -v[90:91]
	v_fma_f64 v[96:97], v[52:53], s[2:3], v[92:93]
	v_mul_f64 v[98:99], v[64:65], s[42:43]
	v_fma_f64 v[92:93], v[52:53], s[2:3], -v[92:93]
	v_add_f64 v[46:47], v[94:95], v[46:47]
	v_mul_f64 v[64:65], v[64:65], s[22:23]
	v_fma_f64 v[100:101], v[52:53], s[38:39], v[58:59]
	v_fma_f64 v[58:59], v[52:53], s[38:39], -v[58:59]
	v_mul_f64 v[94:95], v[48:49], s[18:19]
	v_add_f64 v[30:31], v[90:91], v[30:31]
	v_add_f64 v[6:7], v[96:97], v[6:7]
	v_fma_f64 v[90:91], v[52:53], s[28:29], v[98:99]
	v_add_f64 v[38:39], v[92:93], v[38:39]
	v_fma_f64 v[92:93], v[52:53], s[28:29], -v[98:99]
	v_fma_f64 v[96:97], v[52:53], s[4:5], v[64:65]
	v_add_f64 v[18:19], v[58:59], v[18:19]
	v_fma_f64 v[52:53], v[52:53], s[4:5], -v[64:65]
	v_add_f64 v[58:59], v[123:124], v[60:61]
	v_mul_f64 v[60:61], v[48:49], s[46:47]
	v_fma_f64 v[64:65], v[44:45], s[16:17], v[94:95]
	v_add_f64 v[50:51], v[90:91], v[50:51]
	v_fma_f64 v[90:91], v[44:45], s[16:17], -v[94:95]
	v_add_f64 v[62:63], v[92:93], v[62:63]
	v_add_f64 v[54:55], v[104:105], v[54:55]
	;; [unrolled: 1-line block ×3, first 2 shown]
	v_mul_f64 v[52:53], v[48:49], s[22:23]
	v_add_f64 v[22:23], v[58:59], v[22:23]
	v_fma_f64 v[58:59], v[44:45], s[6:7], v[60:61]
	v_fma_f64 v[60:61], v[44:45], s[6:7], -v[60:61]
	v_add_f64 v[14:15], v[64:65], v[14:15]
	v_mul_f64 v[64:65], v[48:49], s[26:27]
	v_add_f64 v[42:43], v[90:91], v[42:43]
	v_mul_f64 v[90:91], v[48:49], s[42:43]
	v_fma_f64 v[92:93], v[44:45], s[4:5], v[52:53]
	v_fma_f64 v[52:53], v[44:45], s[4:5], -v[52:53]
	v_add_f64 v[26:27], v[58:59], v[26:27]
	v_add_f64 v[34:35], v[60:61], v[34:35]
	v_mul_f64 v[58:59], v[48:49], s[36:37]
	v_fma_f64 v[60:61], v[44:45], s[24:25], v[64:65]
	v_fma_f64 v[64:65], v[44:45], s[24:25], -v[64:65]
	v_fma_f64 v[94:95], v[44:45], s[28:29], v[90:91]
	v_mul_f64 v[48:49], v[48:49], s[40:41]
	v_add_f64 v[30:31], v[52:53], v[30:31]
	v_fma_f64 v[52:53], v[44:45], s[28:29], -v[90:91]
	v_add_f64 v[22:23], v[36:37], v[22:23]
	v_fma_f64 v[90:91], v[44:45], s[0:1], v[58:59]
	v_add_f64 v[6:7], v[60:61], v[6:7]
	v_fma_f64 v[58:59], v[44:45], s[0:1], -v[58:59]
	v_mul_f64 v[60:61], v[28:29], s[26:27]
	v_add_f64 v[38:39], v[64:65], v[38:39]
	v_fma_f64 v[64:65], v[44:45], s[38:39], v[48:49]
	v_add_f64 v[18:19], v[52:53], v[18:19]
	v_fma_f64 v[44:45], v[44:45], s[38:39], -v[48:49]
	v_fma_f64 v[36:37], v[24:25], s[2:3], v[40:41]
	v_add_f64 v[54:55], v[100:101], v[54:55]
	v_add_f64 v[48:49], v[58:59], v[62:63]
	v_fma_f64 v[52:53], v[24:25], s[24:25], v[60:61]
	v_mul_f64 v[62:63], v[28:29], s[30:31]
	v_fma_f64 v[60:61], v[24:25], s[24:25], -v[60:61]
	v_add_f64 v[46:47], v[92:93], v[46:47]
	v_add_f64 v[10:11], v[44:45], v[10:11]
	v_fma_f64 v[40:41], v[24:25], s[2:3], -v[40:41]
	v_mul_f64 v[44:45], v[28:29], s[52:53]
	v_add_f64 v[26:27], v[36:37], v[26:27]
	v_add_f64 v[14:15], v[52:53], v[14:15]
	v_fma_f64 v[52:53], v[24:25], s[28:29], v[62:63]
	v_add_f64 v[42:43], v[60:61], v[42:43]
	v_mul_f64 v[60:61], v[28:29], s[22:23]
	v_fma_f64 v[62:63], v[24:25], s[28:29], -v[62:63]
	v_mul_f64 v[36:37], v[28:29], s[40:41]
	v_add_f64 v[66:67], v[96:97], v[66:67]
	v_add_f64 v[54:55], v[94:95], v[54:55]
	;; [unrolled: 1-line block ×3, first 2 shown]
	v_fma_f64 v[40:41], v[24:25], s[16:17], v[44:45]
	v_add_f64 v[46:47], v[52:53], v[46:47]
	v_fma_f64 v[44:45], v[24:25], s[16:17], -v[44:45]
	v_fma_f64 v[52:53], v[24:25], s[4:5], v[60:61]
	v_mul_f64 v[28:29], v[28:29], s[44:45]
	v_add_f64 v[30:31], v[62:63], v[30:31]
	v_fma_f64 v[62:63], v[24:25], s[38:39], v[36:37]
	v_fma_f64 v[36:37], v[24:25], s[38:39], -v[36:37]
	v_add_f64 v[58:59], v[64:65], v[66:67]
	v_add_f64 v[6:7], v[40:41], v[6:7]
	;; [unrolled: 1-line block ×4, first 2 shown]
	v_mul_f64 v[44:45], v[12:13], s[40:41]
	v_fma_f64 v[52:53], v[24:25], s[0:1], v[28:29]
	v_fma_f64 v[60:61], v[24:25], s[4:5], -v[60:61]
	v_fma_f64 v[24:25], v[24:25], s[0:1], -v[28:29]
	v_add_f64 v[28:29], v[36:37], v[48:49]
	v_mul_f64 v[36:37], v[12:13], s[48:49]
	v_add_f64 v[20:21], v[32:33], v[20:21]
	v_add_f64 v[50:51], v[90:91], v[50:51]
	v_fma_f64 v[32:33], v[0:1], s[38:39], v[44:45]
	v_add_f64 v[48:49], v[52:53], v[58:59]
	v_fma_f64 v[44:45], v[0:1], s[38:39], -v[44:45]
	v_mul_f64 v[52:53], v[12:13], s[26:27]
	v_add_f64 v[10:11], v[24:25], v[10:11]
	v_fma_f64 v[54:55], v[0:1], s[4:5], v[36:37]
	v_mul_f64 v[24:25], v[12:13], s[44:45]
	v_add_f64 v[20:21], v[20:21], v[22:23]
	v_add_f64 v[14:15], v[32:33], v[14:15]
	v_fma_f64 v[22:23], v[0:1], s[4:5], -v[36:37]
	v_add_f64 v[32:33], v[44:45], v[42:43]
	v_fma_f64 v[36:37], v[0:1], s[24:25], v[52:53]
	v_fma_f64 v[42:43], v[0:1], s[24:25], -v[52:53]
	v_mul_f64 v[52:53], v[12:13], s[18:19]
	v_add_f64 v[26:27], v[54:55], v[26:27]
	v_mul_f64 v[54:55], v[12:13], s[34:35]
	v_mul_f64 v[12:13], v[12:13], s[10:11]
	;; [unrolled: 1-line block ×3, first 2 shown]
	v_fma_f64 v[44:45], v[0:1], s[0:1], v[24:25]
	v_add_f64 v[22:23], v[22:23], v[34:35]
	v_add_f64 v[34:35], v[36:37], v[46:47]
	v_fma_f64 v[24:25], v[0:1], s[0:1], -v[24:25]
	v_fma_f64 v[36:37], v[0:1], s[16:17], v[52:53]
	v_add_f64 v[50:51], v[62:63], v[50:51]
	v_add_f64 v[30:31], v[42:43], v[30:31]
	v_fma_f64 v[42:43], v[0:1], s[2:3], v[54:55]
	v_fma_f64 v[46:47], v[0:1], s[6:7], v[12:13]
	v_add_f64 v[8:9], v[16:17], v[8:9]
	v_add_f64 v[6:7], v[44:45], v[6:7]
	v_fma_f64 v[44:45], v[0:1], s[2:3], -v[54:55]
	v_fma_f64 v[12:13], v[0:1], s[6:7], -v[12:13]
	v_add_f64 v[18:19], v[60:61], v[18:19]
	v_fma_f64 v[0:1], v[0:1], s[16:17], -v[52:53]
	v_add_f64 v[16:17], v[24:25], v[38:39]
	v_add_f64 v[24:25], v[36:37], v[40:41]
	;; [unrolled: 1-line block ×8, first 2 shown]
	v_lshl_add_u32 v12, v84, 7, v114
	ds_write2_b64 v12, v[2:3], v[14:15] offset1:1
	ds_write2_b64 v12, v[26:27], v[34:35] offset0:2 offset1:3
	ds_write2_b64 v12, v[6:7], v[24:25] offset0:4 offset1:5
	;; [unrolled: 1-line block ×7, first 2 shown]
	ds_write_b64 v12, v[32:33] offset:128
.LBB0_15:
	s_or_b64 exec, exec, s[20:21]
	s_movk_i32 s0, 0xf1
	v_mul_lo_u16_sdwa v0, v84, s0 dst_sel:DWORD dst_unused:UNUSED_PAD src0_sel:BYTE_0 src1_sel:DWORD
	v_lshrrev_b16_e32 v96, 12, v0
	v_mul_lo_u16_e32 v0, 17, v96
	v_sub_u16_e32 v97, v84, v0
	v_mov_b32_e32 v0, 7
	v_lshlrev_b32_sdwa v0, v0, v97 dst_sel:DWORD dst_unused:UNUSED_PAD src0_sel:DWORD src1_sel:BYTE_0
	s_waitcnt lgkmcnt(0)
	s_barrier
	global_load_dwordx4 v[6:9], v0, s[8:9]
	global_load_dwordx4 v[10:13], v0, s[8:9] offset:16
	global_load_dwordx4 v[14:17], v0, s[8:9] offset:32
	;; [unrolled: 1-line block ×7, first 2 shown]
	ds_read2_b64 v[0:3], v114 offset1:102
	ds_read2_b64 v[26:29], v85 offset0:76 offset1:178
	ds_read2_b64 v[44:47], v116 offset0:152 offset1:254
	;; [unrolled: 1-line block ×3, first 2 shown]
	ds_read_b64 v[48:49], v114 offset:6528
	s_mov_b32 s22, 0x523c161c
	s_mov_b32 s6, 0x8c811c17
	;; [unrolled: 1-line block ×18, first 2 shown]
	s_waitcnt vmcnt(0) lgkmcnt(0)
	s_barrier
	v_cmp_gt_u32_e64 s[0:1], 51, v84
	v_mul_f64 v[22:23], v[2:3], v[8:9]
	v_mul_f64 v[8:9], v[70:71], v[8:9]
	;; [unrolled: 1-line block ×15, first 2 shown]
	v_fma_f64 v[36:37], v[70:71], v[6:7], -v[22:23]
	v_fma_f64 v[32:33], v[2:3], v[6:7], v[8:9]
	v_fma_f64 v[24:25], v[80:81], v[10:11], -v[24:25]
	v_fma_f64 v[22:23], v[82:83], v[14:15], -v[38:39]
	;; [unrolled: 1-line block ×3, first 2 shown]
	v_fma_f64 v[20:21], v[44:45], v[18:19], v[20:21]
	v_fma_f64 v[44:45], v[48:49], v[34:35], v[94:95]
	v_fma_f64 v[48:49], v[4:5], v[34:35], -v[92:93]
	v_fma_f64 v[18:19], v[46:47], v[30:31], v[64:65]
	v_fma_f64 v[34:35], v[78:79], v[50:51], -v[42:43]
	v_fma_f64 v[46:47], v[74:75], v[30:31], -v[62:63]
	v_mul_f64 v[16:17], v[82:83], v[16:17]
	v_fma_f64 v[26:27], v[26:27], v[10:11], v[12:13]
	v_fma_f64 v[42:43], v[60:61], v[50:51], v[52:53]
	v_add_f64 v[2:3], v[32:33], -v[44:45]
	v_add_f64 v[4:5], v[36:37], v[48:49]
	v_add_f64 v[6:7], v[20:21], -v[18:19]
	v_add_f64 v[10:11], v[24:25], v[34:35]
	v_add_f64 v[8:9], v[38:39], v[46:47]
	v_fma_f64 v[30:31], v[76:77], v[40:41], -v[66:67]
	v_fma_f64 v[28:29], v[28:29], v[14:15], v[16:17]
	v_fma_f64 v[40:41], v[58:59], v[40:41], v[90:91]
	v_add_f64 v[14:15], v[26:27], -v[42:43]
	v_mul_f64 v[50:51], v[2:3], s[22:23]
	v_mul_f64 v[54:55], v[6:7], s[24:25]
	;; [unrolled: 1-line block ×3, first 2 shown]
	v_fma_f64 v[62:63], v[10:11], s[20:21], v[68:69]
	v_fma_f64 v[58:59], v[8:9], s[20:21], v[68:69]
	;; [unrolled: 1-line block ×3, first 2 shown]
	v_add_f64 v[12:13], v[22:23], v[30:31]
	v_add_f64 v[70:71], v[10:11], v[4:5]
	v_add_f64 v[16:17], v[28:29], -v[40:41]
	v_fma_f64 v[50:51], v[14:15], s[6:7], v[50:51]
	v_fma_f64 v[54:55], v[2:3], s[6:7], v[54:55]
	v_fma_f64 v[60:61], v[14:15], s[24:25], -v[60:61]
	v_fma_f64 v[62:63], v[8:9], s[16:17], v[62:63]
	v_fma_f64 v[58:59], v[4:5], s[16:17], v[58:59]
	;; [unrolled: 1-line block ×3, first 2 shown]
	v_add_f64 v[72:73], v[8:9], v[70:71]
	v_add_f64 v[70:71], v[12:13], v[70:71]
	v_fma_f64 v[50:51], v[16:17], s[2:3], v[50:51]
	v_fma_f64 v[54:55], v[16:17], s[18:19], v[54:55]
	;; [unrolled: 1-line block ×3, first 2 shown]
	v_fma_f64 v[60:61], v[12:13], -0.5, v[62:63]
	v_add_f64 v[64:65], v[6:7], v[2:3]
	v_add_f64 v[66:67], v[68:69], v[12:13]
	v_fma_f64 v[58:59], v[12:13], -0.5, v[58:59]
	v_fma_f64 v[12:13], v[12:13], -0.5, v[52:53]
	v_add_f64 v[62:63], v[38:39], v[70:71]
	v_fma_f64 v[6:7], v[6:7], s[4:5], v[50:51]
	v_fma_f64 v[2:3], v[2:3], s[4:5], v[16:17]
	;; [unrolled: 1-line block ×3, first 2 shown]
	v_add_f64 v[64:65], v[64:65], -v[14:15]
	v_fma_f64 v[52:53], v[72:73], -0.5, v[66:67]
	v_fma_f64 v[14:15], v[14:15], s[4:5], v[54:55]
	v_fma_f64 v[10:11], v[10:11], s[10:11], v[58:59]
	;; [unrolled: 1-line block ×3, first 2 shown]
	v_add_f64 v[16:17], v[46:47], v[62:63]
	v_mov_b32_e32 v51, 3
	v_add_f64 v[4:5], v[2:3], v[4:5]
	v_mul_f64 v[12:13], v[64:65], s[2:3]
	v_fma_f64 v[52:53], v[64:65], s[2:3], v[52:53]
	v_mul_u32_u24_e32 v58, 0x4c8, v96
	v_add_f64 v[10:11], v[14:15], v[10:11]
	v_add_f64 v[8:9], v[6:7], v[8:9]
	;; [unrolled: 1-line block ×3, first 2 shown]
	v_lshlrev_b32_sdwa v51, v51, v97 dst_sel:DWORD dst_unused:UNUSED_PAD src0_sel:DWORD src1_sel:BYTE_0
	v_fma_f64 v[2:3], v[2:3], -2.0, v[4:5]
	v_add3_u32 v51, 0, v58, v51
	v_fma_f64 v[12:13], v[12:13], -2.0, v[52:53]
	v_add_u32_e32 v50, 0xc00, v114
	v_fma_f64 v[14:15], v[14:15], -2.0, v[10:11]
	v_fma_f64 v[54:55], v[6:7], -2.0, v[8:9]
	ds_write2_b64 v51, v[16:17], v[8:9] offset1:17
	ds_write2_b64 v51, v[10:11], v[52:53] offset0:34 offset1:51
	ds_write2_b64 v51, v[4:5], v[2:3] offset0:68 offset1:85
	ds_write2_b64 v51, v[12:13], v[14:15] offset0:102 offset1:119
	ds_write_b64 v51, v[54:55] offset:1088
	s_waitcnt lgkmcnt(0)
	s_barrier
	ds_read2_b64 v[10:13], v114 offset1:102
	ds_read2_b64 v[6:9], v50 offset0:75 offset1:177
	ds_read2_b64 v[14:17], v85 offset0:76 offset1:178
	;; [unrolled: 1-line block ×3, first 2 shown]
	s_and_saveexec_b64 s[26:27], s[0:1]
	s_cbranch_execz .LBB0_17
; %bb.16:
	ds_read_b64 v[54:55], v114 offset:3264
	ds_read_b64 v[88:89], v114 offset:6936
.LBB0_17:
	s_or_b64 exec, exec, s[26:27]
	v_add_f64 v[36:37], v[36:37], -v[48:49]
	v_add_f64 v[38:39], v[38:39], -v[46:47]
	v_add_f64 v[26:27], v[26:27], v[42:43]
	v_add_f64 v[32:33], v[32:33], v[44:45]
	;; [unrolled: 1-line block ×4, first 2 shown]
	v_add_f64 v[24:25], v[24:25], -v[34:35]
	v_add_f64 v[22:23], v[22:23], -v[30:31]
	v_mul_f64 v[34:35], v[36:37], s[22:23]
	v_mul_f64 v[40:41], v[38:39], s[24:25]
	;; [unrolled: 1-line block ×3, first 2 shown]
	v_fma_f64 v[48:49], v[26:27], s[20:21], v[0:1]
	v_fma_f64 v[30:31], v[32:33], s[20:21], v[0:1]
	;; [unrolled: 1-line block ×3, first 2 shown]
	v_add_f64 v[58:59], v[26:27], v[32:33]
	v_add_f64 v[52:53], v[38:39], v[36:37]
	v_fma_f64 v[34:35], v[24:25], s[6:7], v[34:35]
	v_fma_f64 v[40:41], v[36:37], s[6:7], v[40:41]
	v_fma_f64 v[46:47], v[24:25], s[24:25], -v[46:47]
	v_fma_f64 v[48:49], v[44:45], s[16:17], v[48:49]
	v_fma_f64 v[30:31], v[26:27], s[16:17], v[30:31]
	;; [unrolled: 1-line block ×3, first 2 shown]
	v_add_f64 v[62:63], v[44:45], v[58:59]
	v_add_f64 v[58:59], v[28:29], v[58:59]
	;; [unrolled: 1-line block ×3, first 2 shown]
	v_fma_f64 v[34:35], v[22:23], s[2:3], v[34:35]
	v_fma_f64 v[40:41], v[22:23], s[18:19], v[40:41]
	;; [unrolled: 1-line block ×3, first 2 shown]
	v_fma_f64 v[46:47], v[28:29], -0.5, v[48:49]
	v_fma_f64 v[30:31], v[28:29], -0.5, v[30:31]
	;; [unrolled: 1-line block ×3, first 2 shown]
	v_add_f64 v[20:21], v[20:21], v[58:59]
	s_waitcnt lgkmcnt(0)
	v_fma_f64 v[34:35], v[38:39], s[4:5], v[34:35]
	v_fma_f64 v[38:39], v[24:25], s[4:5], v[40:41]
	v_add_f64 v[24:25], v[52:53], -v[24:25]
	v_fma_f64 v[40:41], v[62:63], -0.5, v[60:61]
	v_fma_f64 v[22:23], v[36:37], s[4:5], v[22:23]
	v_fma_f64 v[32:33], v[32:33], s[10:11], v[46:47]
	v_fma_f64 v[26:27], v[26:27], s[10:11], v[28:29]
	v_fma_f64 v[28:29], v[44:45], s[10:11], v[30:31]
	v_add_f64 v[18:19], v[18:19], v[20:21]
	s_barrier
	v_mul_f64 v[30:31], v[24:25], s[2:3]
	v_fma_f64 v[20:21], v[24:25], s[18:19], v[40:41]
	v_add_f64 v[24:25], v[32:33], -v[22:23]
	v_add_f64 v[26:27], v[26:27], -v[38:39]
	;; [unrolled: 1-line block ×3, first 2 shown]
	v_add_f64 v[0:1], v[0:1], v[18:19]
	v_fma_f64 v[18:19], v[30:31], 2.0, v[20:21]
	v_fma_f64 v[22:23], v[22:23], 2.0, v[24:25]
	;; [unrolled: 1-line block ×4, first 2 shown]
	ds_write2_b64 v51, v[0:1], v[28:29] offset1:17
	ds_write2_b64 v51, v[26:27], v[20:21] offset0:34 offset1:51
	ds_write2_b64 v51, v[24:25], v[22:23] offset0:68 offset1:85
	;; [unrolled: 1-line block ×3, first 2 shown]
	ds_write_b64 v51, v[58:59] offset:1088
	v_add_u32_e32 v0, 0x400, v114
	s_waitcnt lgkmcnt(0)
	s_barrier
	ds_read2_b64 v[18:21], v114 offset1:102
	ds_read2_b64 v[26:29], v50 offset0:75 offset1:177
	ds_read2_b64 v[22:25], v0 offset0:76 offset1:178
	v_add_u32_e32 v0, 0x1000, v114
	ds_read2_b64 v[30:33], v0 offset0:151 offset1:253
	s_and_saveexec_b64 s[2:3], s[0:1]
	s_cbranch_execz .LBB0_19
; %bb.18:
	ds_read_b64 v[58:59], v114 offset:3264
	ds_read_b64 v[56:57], v114 offset:6936
.LBB0_19:
	s_or_b64 exec, exec, s[2:3]
	v_mov_b32_e32 v85, 0
	v_add_u32_e32 v60, 0x66, v84
	v_lshlrev_b64 v[0:1], 4, v[84:85]
	v_subrev_u32_e32 v34, 51, v84
	v_cndmask_b32_e64 v64, v34, v60, s[0:1]
	v_mov_b32_e32 v65, v85
	v_mov_b32_e32 v36, s9
	v_add_co_u32_e64 v0, s[2:3], s8, v0
	v_lshlrev_b64 v[34:35], 4, v[64:65]
	v_addc_co_u32_e64 v1, s[2:3], v36, v1, s[2:3]
	v_add_co_u32_e64 v38, s[2:3], s8, v34
	v_addc_co_u32_e64 v39, s[2:3], v36, v35, s[2:3]
	v_add_u32_e32 v61, 0x132, v84
	s_movk_i32 s2, 0x358b
	global_load_dwordx4 v[34:37], v[0:1], off offset:2176
	global_load_dwordx4 v[42:45], v[0:1], off offset:2992
	v_mul_u32_u24_sdwa v0, v61, s2 dst_sel:DWORD dst_unused:UNUSED_PAD src0_sel:WORD_0 src1_sel:DWORD
	v_lshrrev_b32_e32 v0, 21, v0
	v_mul_lo_u16_e32 v0, 0x99, v0
	v_sub_u16_e32 v73, v61, v0
	v_lshlrev_b32_e32 v0, 4, v73
	global_load_dwordx4 v[50:53], v[38:39], off offset:2176
	global_load_dwordx4 v[46:49], v0, s[8:9] offset:2176
	v_add_u32_e32 v62, 0x198, v84
	v_mul_u32_u24_sdwa v0, v62, s2 dst_sel:DWORD dst_unused:UNUSED_PAD src0_sel:WORD_0 src1_sel:DWORD
	v_lshrrev_b32_e32 v0, 21, v0
	v_mul_lo_u16_e32 v0, 0x99, v0
	v_sub_u16_e32 v74, v62, v0
	v_lshlrev_b32_e32 v0, 4, v74
	global_load_dwordx4 v[38:41], v0, s[8:9] offset:2176
	v_mov_b32_e32 v75, 0x990
	v_cmp_lt_u32_e64 s[2:3], 50, v84
	v_lshlrev_b32_e32 v64, 3, v64
	v_add_u32_e32 v63, 0x800, v114
	s_waitcnt vmcnt(0) lgkmcnt(0)
	s_barrier
	v_mul_f64 v[0:1], v[26:27], v[36:37]
	v_mul_f64 v[65:66], v[30:31], v[44:45]
	;; [unrolled: 1-line block ×4, first 2 shown]
	v_fma_f64 v[0:1], v[6:7], v[34:35], -v[0:1]
	v_fma_f64 v[65:66], v[2:3], v[42:43], -v[65:66]
	;; [unrolled: 1-line block ×4, first 2 shown]
	v_add_f64 v[0:1], v[10:11], -v[0:1]
	v_add_f64 v[71:72], v[14:15], -v[65:66]
	v_cndmask_b32_e64 v65, 0, v75, s[2:3]
	v_lshl_add_u32 v66, v73, 3, 0
	v_add3_u32 v64, 0, v65, v64
	v_add_u32_e32 v65, 0x1000, v66
	v_add_f64 v[67:68], v[12:13], -v[67:68]
	v_add_f64 v[69:70], v[16:17], -v[69:70]
	v_fma_f64 v[10:11], v[10:11], 2.0, -v[0:1]
	v_fma_f64 v[14:15], v[14:15], 2.0, -v[71:72]
	;; [unrolled: 1-line block ×4, first 2 shown]
	ds_write2_b64 v114, v[10:11], v[0:1] offset1:153
	ds_write2_b64 v64, v[12:13], v[67:68] offset1:153
	ds_write2_b64 v63, v[14:15], v[71:72] offset0:101 offset1:254
	ds_write2_b64 v65, v[16:17], v[69:70] offset0:100 offset1:253
	v_lshl_add_u32 v65, v74, 3, 0
	s_and_saveexec_b64 s[2:3], s[0:1]
	s_cbranch_execz .LBB0_21
; %bb.20:
	v_mul_f64 v[0:1], v[56:57], v[40:41]
	v_add_u32_e32 v12, 0x1000, v65
	v_fma_f64 v[0:1], v[88:89], v[38:39], -v[0:1]
	v_add_f64 v[0:1], v[54:55], -v[0:1]
	v_fma_f64 v[10:11], v[54:55], 2.0, -v[0:1]
	ds_write2_b64 v12, v[10:11], v[0:1] offset0:100 offset1:253
.LBB0_21:
	s_or_b64 exec, exec, s[2:3]
	v_mul_f64 v[0:1], v[6:7], v[36:37]
	v_mul_f64 v[6:7], v[8:9], v[52:53]
	;; [unrolled: 1-line block ×4, first 2 shown]
	v_add_u32_e32 v12, 0x400, v114
	v_add_u32_e32 v13, 0x1000, v114
	s_waitcnt lgkmcnt(0)
	s_barrier
	v_fma_f64 v[8:9], v[26:27], v[34:35], v[0:1]
	v_fma_f64 v[6:7], v[28:29], v[50:51], v[6:7]
	;; [unrolled: 1-line block ×4, first 2 shown]
	ds_read2_b64 v[0:3], v114 offset1:102
	v_add_u32_e32 v34, 0x1000, v66
	v_add_f64 v[26:27], v[18:19], -v[8:9]
	v_add_f64 v[28:29], v[20:21], -v[6:7]
	;; [unrolled: 1-line block ×4, first 2 shown]
	ds_read2_b64 v[8:11], v63 offset0:152 offset1:254
	ds_read_b64 v[16:17], v114 offset:6528
	ds_read2_b64 v[4:7], v12 offset0:76 offset1:178
	ds_read2_b64 v[12:15], v13 offset0:100 offset1:202
	s_waitcnt lgkmcnt(0)
	v_fma_f64 v[18:19], v[18:19], 2.0, -v[26:27]
	v_fma_f64 v[20:21], v[20:21], 2.0, -v[28:29]
	;; [unrolled: 1-line block ×4, first 2 shown]
	s_barrier
	ds_write2_b64 v114, v[18:19], v[26:27] offset1:153
	ds_write2_b64 v64, v[20:21], v[28:29] offset1:153
	ds_write2_b64 v63, v[22:23], v[30:31] offset0:101 offset1:254
	ds_write2_b64 v34, v[24:25], v[32:33] offset0:100 offset1:253
	s_and_saveexec_b64 s[2:3], s[0:1]
	s_cbranch_execz .LBB0_23
; %bb.22:
	v_mul_f64 v[18:19], v[88:89], v[40:41]
	v_add_u32_e32 v22, 0x1000, v65
	v_fma_f64 v[18:19], v[56:57], v[38:39], v[18:19]
	v_add_f64 v[18:19], v[58:59], -v[18:19]
	v_fma_f64 v[20:21], v[58:59], 2.0, -v[18:19]
	ds_write2_b64 v22, v[20:21], v[18:19] offset0:100 offset1:253
.LBB0_23:
	s_or_b64 exec, exec, s[2:3]
	s_waitcnt lgkmcnt(0)
	s_barrier
	s_and_saveexec_b64 s[0:1], vcc
	s_cbranch_execz .LBB0_25
; %bb.24:
	v_add_u32_e32 v75, 0xcc, v84
	v_lshlrev_b32_e32 v34, 1, v75
	v_mov_b32_e32 v35, 0
	v_lshlrev_b64 v[18:19], 4, v[34:35]
	v_mov_b32_e32 v40, s9
	v_add_co_u32_e32 v18, vcc, s8, v18
	v_addc_co_u32_e32 v19, vcc, v40, v19, vcc
	v_add_co_u32_e32 v26, vcc, 0x1210, v18
	v_addc_co_u32_e32 v27, vcc, 0, v19, vcc
	;; [unrolled: 2-line block ×3, first 2 shown]
	v_lshlrev_b32_e32 v34, 1, v60
	global_load_dwordx4 v[18:21], v[28:29], off offset:528
	global_load_dwordx4 v[22:25], v[26:27], off offset:16
	v_lshlrev_b64 v[26:27], 4, v[34:35]
	s_movk_i32 s0, 0x1210
	v_add_co_u32_e32 v26, vcc, s8, v26
	v_addc_co_u32_e32 v27, vcc, v40, v27, vcc
	v_add_co_u32_e32 v36, vcc, s0, v26
	s_movk_i32 s1, 0x1000
	v_addc_co_u32_e32 v37, vcc, 0, v27, vcc
	v_add_co_u32_e32 v38, vcc, s1, v26
	v_addc_co_u32_e32 v39, vcc, 0, v27, vcc
	global_load_dwordx4 v[26:29], v[38:39], off offset:528
	global_load_dwordx4 v[30:33], v[36:37], off offset:16
	v_lshlrev_b32_e32 v34, 1, v84
	v_lshlrev_b64 v[34:35], 4, v[34:35]
	v_add_u32_e32 v54, 0x400, v114
	v_add_co_u32_e32 v34, vcc, s8, v34
	v_addc_co_u32_e32 v35, vcc, v40, v35, vcc
	v_add_co_u32_e32 v42, vcc, s0, v34
	v_addc_co_u32_e32 v43, vcc, 0, v35, vcc
	;; [unrolled: 2-line block ×3, first 2 shown]
	global_load_dwordx4 v[34:37], v[44:45], off offset:528
	global_load_dwordx4 v[38:41], v[42:43], off offset:16
	v_add_u32_e32 v42, 0x800, v114
	ds_read_b64 v[58:59], v114 offset:6528
	v_add_u32_e32 v46, 0x1000, v114
	ds_read2_b64 v[42:45], v42 offset0:152 offset1:254
	ds_read2_b64 v[46:49], v46 offset0:100 offset1:202
	ds_read2_b64 v[50:53], v114 offset1:102
	ds_read2_b64 v[54:57], v54 offset0:76 offset1:178
	s_mov_b32 s0, 0xe8584caa
	s_mov_b32 s1, 0x3febb67a
	;; [unrolled: 1-line block ×4, first 2 shown]
	s_waitcnt vmcnt(5) lgkmcnt(3)
	v_mul_f64 v[67:68], v[44:45], v[20:21]
	s_waitcnt vmcnt(4)
	v_mul_f64 v[69:70], v[58:59], v[24:25]
	v_mul_f64 v[20:21], v[10:11], v[20:21]
	;; [unrolled: 1-line block ×3, first 2 shown]
	v_fma_f64 v[10:11], v[10:11], v[18:19], -v[67:68]
	v_fma_f64 v[16:17], v[16:17], v[22:23], -v[69:70]
	v_fma_f64 v[18:19], v[18:19], v[44:45], v[20:21]
	v_fma_f64 v[20:21], v[22:23], v[58:59], v[24:25]
	s_waitcnt vmcnt(3)
	v_mul_f64 v[63:64], v[42:43], v[28:29]
	s_waitcnt vmcnt(2) lgkmcnt(2)
	v_mul_f64 v[65:66], v[48:49], v[32:33]
	v_mul_f64 v[28:29], v[8:9], v[28:29]
	;; [unrolled: 1-line block ×3, first 2 shown]
	v_add_f64 v[44:45], v[18:19], -v[20:21]
	v_fma_f64 v[8:9], v[8:9], v[26:27], -v[63:64]
	v_fma_f64 v[63:64], v[14:15], v[30:31], -v[65:66]
	v_fma_f64 v[14:15], v[26:27], v[42:43], v[28:29]
	v_fma_f64 v[26:27], v[30:31], v[48:49], v[32:33]
	v_add_f64 v[42:43], v[10:11], v[16:17]
	s_waitcnt vmcnt(1) lgkmcnt(0)
	v_mul_f64 v[71:72], v[56:57], v[36:37]
	s_waitcnt vmcnt(0)
	v_mul_f64 v[73:74], v[46:47], v[40:41]
	v_mul_f64 v[36:37], v[6:7], v[36:37]
	;; [unrolled: 1-line block ×3, first 2 shown]
	v_add_f64 v[24:25], v[8:9], v[63:64]
	v_add_f64 v[22:23], v[14:15], v[52:53]
	v_fma_f64 v[28:29], v[6:7], v[34:35], -v[71:72]
	v_add_f64 v[6:7], v[14:15], v[26:27]
	v_fma_f64 v[32:33], v[12:13], v[38:39], -v[73:74]
	v_fma_f64 v[30:31], v[34:35], v[56:57], v[36:37]
	v_fma_f64 v[34:35], v[38:39], v[46:47], v[40:41]
	v_add_f64 v[12:13], v[8:9], -v[63:64]
	v_add_f64 v[38:39], v[2:3], v[8:9]
	v_add_f64 v[8:9], v[18:19], v[20:21]
	v_add_f64 v[36:37], v[14:15], -v[26:27]
	v_add_f64 v[14:15], v[18:19], v[54:55]
	v_add_f64 v[18:19], v[4:5], v[10:11]
	v_fma_f64 v[52:53], v[6:7], -0.5, v[52:53]
	v_fma_f64 v[2:3], v[24:25], -0.5, v[2:3]
	v_add_f64 v[40:41], v[10:11], -v[16:17]
	v_add_f64 v[48:49], v[30:31], v[34:35]
	v_add_f64 v[56:57], v[28:29], v[32:33]
	v_fma_f64 v[24:25], v[8:9], -0.5, v[54:55]
	v_fma_f64 v[4:5], v[42:43], -0.5, v[4:5]
	v_add_f64 v[10:11], v[20:21], v[14:15]
	v_add_f64 v[8:9], v[18:19], v[16:17]
	v_fma_f64 v[14:15], v[12:13], s[0:1], v[52:53]
	v_fma_f64 v[18:19], v[12:13], s[2:3], v[52:53]
	;; [unrolled: 1-line block ×4, first 2 shown]
	v_add_f64 v[36:37], v[30:31], v[50:51]
	v_add_f64 v[46:47], v[28:29], -v[32:33]
	v_add_f64 v[6:7], v[26:27], v[22:23]
	v_fma_f64 v[42:43], v[48:49], -0.5, v[50:51]
	v_fma_f64 v[22:23], v[40:41], s[0:1], v[24:25]
	v_fma_f64 v[26:27], v[40:41], s[2:3], v[24:25]
	;; [unrolled: 1-line block ×4, first 2 shown]
	v_add_f64 v[4:5], v[38:39], v[63:64]
	v_fma_f64 v[38:39], v[56:57], -0.5, v[0:1]
	v_add_f64 v[40:41], v[30:31], -v[34:35]
	v_add_f64 v[48:49], v[0:1], v[28:29]
	v_mad_u64_u32 v[44:45], s[4:5], s12, v84, 0
	v_add_f64 v[34:35], v[36:37], v[34:35]
	v_fma_f64 v[2:3], v[46:47], s[0:1], v[42:43]
	v_mov_b32_e32 v0, v45
	v_mad_u64_u32 v[36:37], s[4:5], s13, v84, v[0:1]
	v_fma_f64 v[0:1], v[40:41], s[2:3], v[38:39]
	v_fma_f64 v[28:29], v[40:41], s[0:1], v[38:39]
	v_add_f64 v[32:33], v[48:49], v[32:33]
	v_mad_u64_u32 v[38:39], s[0:1], s12, v61, 0
	v_fma_f64 v[30:31], v[46:47], s[2:3], v[42:43]
	v_mov_b32_e32 v45, v36
	v_mov_b32_e32 v36, s15
	v_add_co_u32_e32 v42, vcc, s14, v86
	v_addc_co_u32_e32 v43, vcc, v36, v87, vcc
	v_lshlrev_b64 v[36:37], 4, v[44:45]
	v_mad_u64_u32 v[39:40], s[0:1], s13, v61, v[39:40]
	v_add_co_u32_e32 v36, vcc, v42, v36
	v_add_u32_e32 v44, 0x264, v84
	v_addc_co_u32_e32 v37, vcc, v43, v37, vcc
	v_mad_u64_u32 v[40:41], s[0:1], s12, v44, 0
	global_store_dwordx4 v[36:37], v[32:35], off
	s_movk_i32 s2, 0x264
	v_lshlrev_b64 v[32:33], 4, v[38:39]
	v_mov_b32_e32 v34, v41
	v_add_co_u32_e32 v32, vcc, v42, v32
	v_addc_co_u32_e32 v33, vcc, v43, v33, vcc
	v_mad_u64_u32 v[34:35], s[0:1], s13, v44, v[34:35]
	global_store_dwordx4 v[32:33], v[28:31], off
	v_mov_b32_e32 v41, v34
	v_mad_u64_u32 v[30:31], s[0:1], s12, v60, 0
	v_lshlrev_b64 v[28:29], 4, v[40:41]
	v_mad_u64_u32 v[31:32], s[0:1], s13, v60, v[31:32]
	v_mad_u64_u32 v[32:33], s[0:1], s12, v62, 0
	v_add_co_u32_e32 v28, vcc, v42, v28
	v_addc_co_u32_e32 v29, vcc, v43, v29, vcc
	global_store_dwordx4 v[28:29], v[0:3], off
	s_nop 0
	v_lshlrev_b64 v[0:1], 4, v[30:31]
	v_mov_b32_e32 v2, v33
	v_mad_u64_u32 v[2:3], s[0:1], s13, v62, v[2:3]
	v_add_co_u32_e32 v0, vcc, v42, v0
	v_addc_co_u32_e32 v1, vcc, v43, v1, vcc
	global_store_dwordx4 v[0:1], v[4:7], off
	v_mov_b32_e32 v33, v2
	v_add_u32_e32 v4, 0x2ca, v84
	v_mad_u64_u32 v[2:3], s[0:1], s12, v4, 0
	s_mov_b32 s0, 0xd62b80d7
	v_mul_hi_u32 v5, v75, s0
	v_mad_u64_u32 v[3:4], s[0:1], s13, v4, v[3:4]
	v_lshlrev_b64 v[0:1], 4, v[32:33]
	v_lshrrev_b32_e32 v4, 8, v5
	v_mad_u32_u24 v6, v4, s2, v75
	v_mad_u64_u32 v[4:5], s[0:1], s12, v6, 0
	v_add_co_u32_e32 v0, vcc, v42, v0
	v_addc_co_u32_e32 v1, vcc, v43, v1, vcc
	global_store_dwordx4 v[0:1], v[16:19], off
	v_lshlrev_b64 v[0:1], 4, v[2:3]
	v_mov_b32_e32 v2, v5
	v_mad_u64_u32 v[2:3], s[0:1], s13, v6, v[2:3]
	v_add_co_u32_e32 v0, vcc, v42, v0
	v_addc_co_u32_e32 v1, vcc, v43, v1, vcc
	v_mov_b32_e32 v5, v2
	global_store_dwordx4 v[0:1], v[12:15], off
	v_lshlrev_b64 v[0:1], 4, v[4:5]
	v_add_u32_e32 v4, 0x132, v6
	v_mad_u64_u32 v[2:3], s[0:1], s12, v4, 0
	v_add_u32_e32 v6, 0x264, v6
	v_add_co_u32_e32 v0, vcc, v42, v0
	v_mad_u64_u32 v[3:4], s[0:1], s13, v4, v[3:4]
	v_mad_u64_u32 v[4:5], s[0:1], s12, v6, 0
	v_addc_co_u32_e32 v1, vcc, v43, v1, vcc
	global_store_dwordx4 v[0:1], v[8:11], off
	v_lshlrev_b64 v[0:1], 4, v[2:3]
	v_mov_b32_e32 v2, v5
	v_mad_u64_u32 v[2:3], s[0:1], s13, v6, v[2:3]
	v_add_co_u32_e32 v0, vcc, v42, v0
	v_addc_co_u32_e32 v1, vcc, v43, v1, vcc
	v_mov_b32_e32 v5, v2
	global_store_dwordx4 v[0:1], v[24:27], off
	v_lshlrev_b64 v[0:1], 4, v[4:5]
	v_add_co_u32_e32 v0, vcc, v42, v0
	v_addc_co_u32_e32 v1, vcc, v43, v1, vcc
	global_store_dwordx4 v[0:1], v[20:23], off
.LBB0_25:
	s_endpgm
	.section	.rodata,"a",@progbits
	.p2align	6, 0x0
	.amdhsa_kernel fft_rtc_fwd_len918_factors_17_9_2_3_wgs_102_tpt_102_halfLds_dp_ip_CI_sbrr_dirReg
		.amdhsa_group_segment_fixed_size 0
		.amdhsa_private_segment_fixed_size 0
		.amdhsa_kernarg_size 88
		.amdhsa_user_sgpr_count 6
		.amdhsa_user_sgpr_private_segment_buffer 1
		.amdhsa_user_sgpr_dispatch_ptr 0
		.amdhsa_user_sgpr_queue_ptr 0
		.amdhsa_user_sgpr_kernarg_segment_ptr 1
		.amdhsa_user_sgpr_dispatch_id 0
		.amdhsa_user_sgpr_flat_scratch_init 0
		.amdhsa_user_sgpr_private_segment_size 0
		.amdhsa_uses_dynamic_stack 0
		.amdhsa_system_sgpr_private_segment_wavefront_offset 0
		.amdhsa_system_sgpr_workgroup_id_x 1
		.amdhsa_system_sgpr_workgroup_id_y 0
		.amdhsa_system_sgpr_workgroup_id_z 0
		.amdhsa_system_sgpr_workgroup_info 0
		.amdhsa_system_vgpr_workitem_id 0
		.amdhsa_next_free_vgpr 152
		.amdhsa_next_free_sgpr 58
		.amdhsa_reserve_vcc 1
		.amdhsa_reserve_flat_scratch 0
		.amdhsa_float_round_mode_32 0
		.amdhsa_float_round_mode_16_64 0
		.amdhsa_float_denorm_mode_32 3
		.amdhsa_float_denorm_mode_16_64 3
		.amdhsa_dx10_clamp 1
		.amdhsa_ieee_mode 1
		.amdhsa_fp16_overflow 0
		.amdhsa_exception_fp_ieee_invalid_op 0
		.amdhsa_exception_fp_denorm_src 0
		.amdhsa_exception_fp_ieee_div_zero 0
		.amdhsa_exception_fp_ieee_overflow 0
		.amdhsa_exception_fp_ieee_underflow 0
		.amdhsa_exception_fp_ieee_inexact 0
		.amdhsa_exception_int_div_zero 0
	.end_amdhsa_kernel
	.text
.Lfunc_end0:
	.size	fft_rtc_fwd_len918_factors_17_9_2_3_wgs_102_tpt_102_halfLds_dp_ip_CI_sbrr_dirReg, .Lfunc_end0-fft_rtc_fwd_len918_factors_17_9_2_3_wgs_102_tpt_102_halfLds_dp_ip_CI_sbrr_dirReg
                                        ; -- End function
	.section	.AMDGPU.csdata,"",@progbits
; Kernel info:
; codeLenInByte = 12640
; NumSgprs: 62
; NumVgprs: 152
; ScratchSize: 0
; MemoryBound: 1
; FloatMode: 240
; IeeeMode: 1
; LDSByteSize: 0 bytes/workgroup (compile time only)
; SGPRBlocks: 7
; VGPRBlocks: 37
; NumSGPRsForWavesPerEU: 62
; NumVGPRsForWavesPerEU: 152
; Occupancy: 1
; WaveLimiterHint : 1
; COMPUTE_PGM_RSRC2:SCRATCH_EN: 0
; COMPUTE_PGM_RSRC2:USER_SGPR: 6
; COMPUTE_PGM_RSRC2:TRAP_HANDLER: 0
; COMPUTE_PGM_RSRC2:TGID_X_EN: 1
; COMPUTE_PGM_RSRC2:TGID_Y_EN: 0
; COMPUTE_PGM_RSRC2:TGID_Z_EN: 0
; COMPUTE_PGM_RSRC2:TIDIG_COMP_CNT: 0
	.type	__hip_cuid_d1373ea4563e978a,@object ; @__hip_cuid_d1373ea4563e978a
	.section	.bss,"aw",@nobits
	.globl	__hip_cuid_d1373ea4563e978a
__hip_cuid_d1373ea4563e978a:
	.byte	0                               ; 0x0
	.size	__hip_cuid_d1373ea4563e978a, 1

	.ident	"AMD clang version 19.0.0git (https://github.com/RadeonOpenCompute/llvm-project roc-6.4.0 25133 c7fe45cf4b819c5991fe208aaa96edf142730f1d)"
	.section	".note.GNU-stack","",@progbits
	.addrsig
	.addrsig_sym __hip_cuid_d1373ea4563e978a
	.amdgpu_metadata
---
amdhsa.kernels:
  - .args:
      - .actual_access:  read_only
        .address_space:  global
        .offset:         0
        .size:           8
        .value_kind:     global_buffer
      - .offset:         8
        .size:           8
        .value_kind:     by_value
      - .actual_access:  read_only
        .address_space:  global
        .offset:         16
        .size:           8
        .value_kind:     global_buffer
      - .actual_access:  read_only
        .address_space:  global
        .offset:         24
        .size:           8
        .value_kind:     global_buffer
      - .offset:         32
        .size:           8
        .value_kind:     by_value
      - .actual_access:  read_only
        .address_space:  global
        .offset:         40
        .size:           8
        .value_kind:     global_buffer
      - .actual_access:  read_only
        .address_space:  global
        .offset:         48
        .size:           8
        .value_kind:     global_buffer
      - .offset:         56
        .size:           4
        .value_kind:     by_value
      - .actual_access:  read_only
        .address_space:  global
        .offset:         64
        .size:           8
        .value_kind:     global_buffer
      - .actual_access:  read_only
        .address_space:  global
        .offset:         72
        .size:           8
        .value_kind:     global_buffer
      - .address_space:  global
        .offset:         80
        .size:           8
        .value_kind:     global_buffer
    .group_segment_fixed_size: 0
    .kernarg_segment_align: 8
    .kernarg_segment_size: 88
    .language:       OpenCL C
    .language_version:
      - 2
      - 0
    .max_flat_workgroup_size: 102
    .name:           fft_rtc_fwd_len918_factors_17_9_2_3_wgs_102_tpt_102_halfLds_dp_ip_CI_sbrr_dirReg
    .private_segment_fixed_size: 0
    .sgpr_count:     62
    .sgpr_spill_count: 0
    .symbol:         fft_rtc_fwd_len918_factors_17_9_2_3_wgs_102_tpt_102_halfLds_dp_ip_CI_sbrr_dirReg.kd
    .uniform_work_group_size: 1
    .uses_dynamic_stack: false
    .vgpr_count:     152
    .vgpr_spill_count: 0
    .wavefront_size: 64
amdhsa.target:   amdgcn-amd-amdhsa--gfx906
amdhsa.version:
  - 1
  - 2
...

	.end_amdgpu_metadata
